;; amdgpu-corpus repo=ROCm/rocFFT kind=compiled arch=gfx1030 opt=O3
	.text
	.amdgcn_target "amdgcn-amd-amdhsa--gfx1030"
	.amdhsa_code_object_version 6
	.protected	fft_rtc_back_len150_factors_10_5_3_wgs_60_tpt_5_halfLds_dp_ip_CI_unitstride_sbrr_dirReg ; -- Begin function fft_rtc_back_len150_factors_10_5_3_wgs_60_tpt_5_halfLds_dp_ip_CI_unitstride_sbrr_dirReg
	.globl	fft_rtc_back_len150_factors_10_5_3_wgs_60_tpt_5_halfLds_dp_ip_CI_unitstride_sbrr_dirReg
	.p2align	8
	.type	fft_rtc_back_len150_factors_10_5_3_wgs_60_tpt_5_halfLds_dp_ip_CI_unitstride_sbrr_dirReg,@function
fft_rtc_back_len150_factors_10_5_3_wgs_60_tpt_5_halfLds_dp_ip_CI_unitstride_sbrr_dirReg: ; @fft_rtc_back_len150_factors_10_5_3_wgs_60_tpt_5_halfLds_dp_ip_CI_unitstride_sbrr_dirReg
; %bb.0:
	s_load_dwordx4 s[8:11], s[4:5], 0x0
	v_mul_u32_u24_e32 v1, 0x3334, v0
	s_clause 0x1
	s_load_dwordx2 s[2:3], s[4:5], 0x50
	s_load_dwordx2 s[12:13], s[4:5], 0x18
	v_mov_b32_e32 v3, 0
	v_lshrrev_b32_e32 v1, 16, v1
	v_mad_u64_u32 v[124:125], null, s6, 12, v[1:2]
	v_mov_b32_e32 v125, v3
	v_mov_b32_e32 v1, 0
	;; [unrolled: 1-line block ×4, first 2 shown]
	s_waitcnt lgkmcnt(0)
	v_cmp_lt_u64_e64 s0, s[10:11], 2
	v_mov_b32_e32 v8, v125
	s_and_b32 vcc_lo, exec_lo, s0
	s_cbranch_vccnz .LBB0_8
; %bb.1:
	s_load_dwordx2 s[0:1], s[4:5], 0x10
	v_mov_b32_e32 v1, 0
	v_mov_b32_e32 v5, v124
	s_add_u32 s6, s12, 8
	v_mov_b32_e32 v2, 0
	v_mov_b32_e32 v6, v125
	s_addc_u32 s7, s13, 0
	s_mov_b64 s[16:17], 1
	s_waitcnt lgkmcnt(0)
	s_add_u32 s14, s0, 8
	s_addc_u32 s15, s1, 0
.LBB0_2:                                ; =>This Inner Loop Header: Depth=1
	s_load_dwordx2 s[18:19], s[14:15], 0x0
                                        ; implicit-def: $vgpr7_vgpr8
	s_mov_b32 s0, exec_lo
	s_waitcnt lgkmcnt(0)
	v_or_b32_e32 v4, s19, v6
	v_cmpx_ne_u64_e32 0, v[3:4]
	s_xor_b32 s1, exec_lo, s0
	s_cbranch_execz .LBB0_4
; %bb.3:                                ;   in Loop: Header=BB0_2 Depth=1
	v_cvt_f32_u32_e32 v4, s18
	v_cvt_f32_u32_e32 v7, s19
	s_sub_u32 s0, 0, s18
	s_subb_u32 s20, 0, s19
	v_fmac_f32_e32 v4, 0x4f800000, v7
	v_rcp_f32_e32 v4, v4
	v_mul_f32_e32 v4, 0x5f7ffffc, v4
	v_mul_f32_e32 v7, 0x2f800000, v4
	v_trunc_f32_e32 v7, v7
	v_fmac_f32_e32 v4, 0xcf800000, v7
	v_cvt_u32_f32_e32 v7, v7
	v_cvt_u32_f32_e32 v4, v4
	v_mul_lo_u32 v8, s0, v7
	v_mul_hi_u32 v9, s0, v4
	v_mul_lo_u32 v10, s20, v4
	v_add_nc_u32_e32 v8, v9, v8
	v_mul_lo_u32 v9, s0, v4
	v_add_nc_u32_e32 v8, v8, v10
	v_mul_hi_u32 v10, v4, v9
	v_mul_lo_u32 v11, v4, v8
	v_mul_hi_u32 v12, v4, v8
	v_mul_hi_u32 v13, v7, v9
	v_mul_lo_u32 v9, v7, v9
	v_mul_hi_u32 v14, v7, v8
	v_mul_lo_u32 v8, v7, v8
	v_add_co_u32 v10, vcc_lo, v10, v11
	v_add_co_ci_u32_e32 v11, vcc_lo, 0, v12, vcc_lo
	v_add_co_u32 v9, vcc_lo, v10, v9
	v_add_co_ci_u32_e32 v9, vcc_lo, v11, v13, vcc_lo
	v_add_co_ci_u32_e32 v10, vcc_lo, 0, v14, vcc_lo
	v_add_co_u32 v8, vcc_lo, v9, v8
	v_add_co_ci_u32_e32 v9, vcc_lo, 0, v10, vcc_lo
	v_add_co_u32 v4, vcc_lo, v4, v8
	v_add_co_ci_u32_e32 v7, vcc_lo, v7, v9, vcc_lo
	v_mul_hi_u32 v8, s0, v4
	v_mul_lo_u32 v10, s20, v4
	v_mul_lo_u32 v9, s0, v7
	v_add_nc_u32_e32 v8, v8, v9
	v_mul_lo_u32 v9, s0, v4
	v_add_nc_u32_e32 v8, v8, v10
	v_mul_hi_u32 v10, v4, v9
	v_mul_lo_u32 v11, v4, v8
	v_mul_hi_u32 v12, v4, v8
	v_mul_hi_u32 v13, v7, v9
	v_mul_lo_u32 v9, v7, v9
	v_mul_hi_u32 v14, v7, v8
	v_mul_lo_u32 v8, v7, v8
	v_add_co_u32 v10, vcc_lo, v10, v11
	v_add_co_ci_u32_e32 v11, vcc_lo, 0, v12, vcc_lo
	v_add_co_u32 v9, vcc_lo, v10, v9
	v_add_co_ci_u32_e32 v9, vcc_lo, v11, v13, vcc_lo
	v_add_co_ci_u32_e32 v10, vcc_lo, 0, v14, vcc_lo
	v_add_co_u32 v8, vcc_lo, v9, v8
	v_add_co_ci_u32_e32 v9, vcc_lo, 0, v10, vcc_lo
	v_add_co_u32 v4, vcc_lo, v4, v8
	v_add_co_ci_u32_e32 v11, vcc_lo, v7, v9, vcc_lo
	v_mul_hi_u32 v13, v5, v4
	v_mad_u64_u32 v[9:10], null, v6, v4, 0
	v_mad_u64_u32 v[7:8], null, v5, v11, 0
	v_mad_u64_u32 v[11:12], null, v6, v11, 0
	v_add_co_u32 v4, vcc_lo, v13, v7
	v_add_co_ci_u32_e32 v7, vcc_lo, 0, v8, vcc_lo
	v_add_co_u32 v4, vcc_lo, v4, v9
	v_add_co_ci_u32_e32 v4, vcc_lo, v7, v10, vcc_lo
	v_add_co_ci_u32_e32 v7, vcc_lo, 0, v12, vcc_lo
	v_add_co_u32 v4, vcc_lo, v4, v11
	v_add_co_ci_u32_e32 v9, vcc_lo, 0, v7, vcc_lo
	v_mul_lo_u32 v10, s19, v4
	v_mad_u64_u32 v[7:8], null, s18, v4, 0
	v_mul_lo_u32 v11, s18, v9
	v_sub_co_u32 v7, vcc_lo, v5, v7
	v_add3_u32 v8, v8, v11, v10
	v_sub_nc_u32_e32 v10, v6, v8
	v_subrev_co_ci_u32_e64 v10, s0, s19, v10, vcc_lo
	v_add_co_u32 v11, s0, v4, 2
	v_add_co_ci_u32_e64 v12, s0, 0, v9, s0
	v_sub_co_u32 v13, s0, v7, s18
	v_sub_co_ci_u32_e32 v8, vcc_lo, v6, v8, vcc_lo
	v_subrev_co_ci_u32_e64 v10, s0, 0, v10, s0
	v_cmp_le_u32_e32 vcc_lo, s18, v13
	v_cmp_eq_u32_e64 s0, s19, v8
	v_cndmask_b32_e64 v13, 0, -1, vcc_lo
	v_cmp_le_u32_e32 vcc_lo, s19, v10
	v_cndmask_b32_e64 v14, 0, -1, vcc_lo
	v_cmp_le_u32_e32 vcc_lo, s18, v7
	;; [unrolled: 2-line block ×3, first 2 shown]
	v_cndmask_b32_e64 v15, 0, -1, vcc_lo
	v_cmp_eq_u32_e32 vcc_lo, s19, v10
	v_cndmask_b32_e64 v7, v15, v7, s0
	v_cndmask_b32_e32 v10, v14, v13, vcc_lo
	v_add_co_u32 v13, vcc_lo, v4, 1
	v_add_co_ci_u32_e32 v14, vcc_lo, 0, v9, vcc_lo
	v_cmp_ne_u32_e32 vcc_lo, 0, v10
	v_cndmask_b32_e32 v8, v14, v12, vcc_lo
	v_cndmask_b32_e32 v10, v13, v11, vcc_lo
	v_cmp_ne_u32_e32 vcc_lo, 0, v7
	v_cndmask_b32_e32 v8, v9, v8, vcc_lo
	v_cndmask_b32_e32 v7, v4, v10, vcc_lo
.LBB0_4:                                ;   in Loop: Header=BB0_2 Depth=1
	s_andn2_saveexec_b32 s0, s1
	s_cbranch_execz .LBB0_6
; %bb.5:                                ;   in Loop: Header=BB0_2 Depth=1
	v_cvt_f32_u32_e32 v4, s18
	s_sub_i32 s1, 0, s18
	v_rcp_iflag_f32_e32 v4, v4
	v_mul_f32_e32 v4, 0x4f7ffffe, v4
	v_cvt_u32_f32_e32 v4, v4
	v_mul_lo_u32 v7, s1, v4
	v_mul_hi_u32 v7, v4, v7
	v_add_nc_u32_e32 v4, v4, v7
	v_mul_hi_u32 v4, v5, v4
	v_mul_lo_u32 v7, v4, s18
	v_add_nc_u32_e32 v8, 1, v4
	v_sub_nc_u32_e32 v7, v5, v7
	v_subrev_nc_u32_e32 v9, s18, v7
	v_cmp_le_u32_e32 vcc_lo, s18, v7
	v_cndmask_b32_e32 v7, v7, v9, vcc_lo
	v_cndmask_b32_e32 v4, v4, v8, vcc_lo
	v_cmp_le_u32_e32 vcc_lo, s18, v7
	v_add_nc_u32_e32 v8, 1, v4
	v_cndmask_b32_e32 v7, v4, v8, vcc_lo
	v_mov_b32_e32 v8, v3
.LBB0_6:                                ;   in Loop: Header=BB0_2 Depth=1
	s_or_b32 exec_lo, exec_lo, s0
	s_load_dwordx2 s[0:1], s[6:7], 0x0
	v_mul_lo_u32 v4, v8, s18
	v_mul_lo_u32 v11, v7, s19
	v_mad_u64_u32 v[9:10], null, v7, s18, 0
	s_add_u32 s16, s16, 1
	s_addc_u32 s17, s17, 0
	s_add_u32 s6, s6, 8
	s_addc_u32 s7, s7, 0
	;; [unrolled: 2-line block ×3, first 2 shown]
	v_add3_u32 v4, v10, v11, v4
	v_sub_co_u32 v5, vcc_lo, v5, v9
	v_sub_co_ci_u32_e32 v4, vcc_lo, v6, v4, vcc_lo
	s_waitcnt lgkmcnt(0)
	v_mul_lo_u32 v6, s1, v5
	v_mul_lo_u32 v4, s0, v4
	v_mad_u64_u32 v[1:2], null, s0, v5, v[1:2]
	v_cmp_ge_u64_e64 s0, s[16:17], s[10:11]
	s_and_b32 vcc_lo, exec_lo, s0
	v_add3_u32 v2, v6, v2, v4
	s_cbranch_vccnz .LBB0_8
; %bb.7:                                ;   in Loop: Header=BB0_2 Depth=1
	v_mov_b32_e32 v5, v7
	v_mov_b32_e32 v6, v8
	s_branch .LBB0_2
.LBB0_8:
	s_lshl_b64 s[0:1], s[10:11], 3
	v_mul_hi_u32 v3, 0x33333334, v0
	s_add_u32 s0, s12, s0
	s_addc_u32 s1, s13, s1
	s_load_dwordx2 s[0:1], s[0:1], 0x0
	s_load_dwordx2 s[4:5], s[4:5], 0x20
	v_mul_u32_u24_e32 v3, 5, v3
	v_sub_nc_u32_e32 v120, v0, v3
	v_or_b32_e32 v136, 40, v120
	v_or_b32_e32 v137, 0x50, v120
	s_waitcnt lgkmcnt(0)
	v_mul_lo_u32 v4, s0, v8
	v_mul_lo_u32 v5, s1, v7
	v_mad_u64_u32 v[1:2], null, s0, v7, v[1:2]
	v_cmp_gt_u64_e32 vcc_lo, s[4:5], v[7:8]
	v_cmp_le_u64_e64 s0, s[4:5], v[7:8]
	v_add3_u32 v2, v5, v2, v4
	s_and_saveexec_b32 s1, s0
	s_xor_b32 s0, exec_lo, s1
; %bb.9:
	v_or_b32_e32 v136, 40, v120
	v_or_b32_e32 v137, 0x50, v120
; %bb.10:
	s_or_saveexec_b32 s1, s0
	v_lshlrev_b64 v[122:123], 4, v[1:2]
                                        ; implicit-def: $vgpr6_vgpr7
                                        ; implicit-def: $vgpr2_vgpr3
                                        ; implicit-def: $vgpr14_vgpr15
                                        ; implicit-def: $vgpr10_vgpr11
                                        ; implicit-def: $vgpr34_vgpr35
                                        ; implicit-def: $vgpr30_vgpr31
                                        ; implicit-def: $vgpr38_vgpr39
                                        ; implicit-def: $vgpr18_vgpr19
                                        ; implicit-def: $vgpr26_vgpr27
                                        ; implicit-def: $vgpr22_vgpr23
                                        ; implicit-def: $vgpr46_vgpr47
                                        ; implicit-def: $vgpr78_vgpr79
                                        ; implicit-def: $vgpr50_vgpr51
                                        ; implicit-def: $vgpr70_vgpr71
                                        ; implicit-def: $vgpr66_vgpr67
                                        ; implicit-def: $vgpr86_vgpr87
                                        ; implicit-def: $vgpr74_vgpr75
                                        ; implicit-def: $vgpr58_vgpr59
                                        ; implicit-def: $vgpr62_vgpr63
                                        ; implicit-def: $vgpr42_vgpr43
                                        ; implicit-def: $vgpr94_vgpr95
                                        ; implicit-def: $vgpr82_vgpr83
                                        ; implicit-def: $vgpr102_vgpr103
                                        ; implicit-def: $vgpr90_vgpr91
                                        ; implicit-def: $vgpr106_vgpr107
                                        ; implicit-def: $vgpr98_vgpr99
                                        ; implicit-def: $vgpr118_vgpr119
                                        ; implicit-def: $vgpr110_vgpr111
                                        ; implicit-def: $vgpr114_vgpr115
                                        ; implicit-def: $vgpr54_vgpr55
	s_xor_b32 exec_lo, exec_lo, s1
; %bb.11:
	v_mov_b32_e32 v121, 0
	v_add_co_u32 v2, s0, s2, v122
	v_add_co_ci_u32_e64 v3, s0, s3, v123, s0
	v_lshlrev_b64 v[0:1], 4, v[120:121]
	v_add_co_u32 v0, s0, v2, v0
	v_add_co_ci_u32_e64 v1, s0, v3, v1, s0
	v_add_co_u32 v4, s0, 0x800, v0
	v_add_co_ci_u32_e64 v5, s0, 0, v1, s0
	s_clause 0x1d
	global_load_dwordx4 v[52:55], v[0:1], off
	global_load_dwordx4 v[40:43], v[0:1], off offset:80
	global_load_dwordx4 v[108:111], v[0:1], off offset:480
	;; [unrolled: 1-line block ×29, first 2 shown]
; %bb.12:
	s_or_b32 exec_lo, exec_lo, s1
	s_waitcnt vmcnt(7)
	v_add_f64 v[125:126], v[102:103], v[106:107]
	s_waitcnt vmcnt(3)
	v_add_f64 v[127:128], v[94:95], v[118:119]
	v_add_f64 v[150:151], v[100:101], v[104:105]
	v_add_f64 v[152:153], v[116:117], -v[92:93]
	v_add_f64 v[156:157], v[92:93], v[116:117]
	v_add_f64 v[158:159], v[104:105], -v[100:101]
	s_mov_b32 s4, 0x134454ff
	s_mov_b32 s5, 0xbfee6f0e
	;; [unrolled: 1-line block ×4, first 2 shown]
	v_add_f64 v[133:134], v[88:89], v[96:97]
	v_add_f64 v[138:139], v[80:81], v[108:109]
	v_add_f64 v[168:169], v[118:119], -v[106:107]
	v_add_f64 v[170:171], v[94:95], -v[102:103]
	;; [unrolled: 1-line block ×6, first 2 shown]
	s_mov_b32 s12, 0x4755a5e
	s_mov_b32 s13, 0xbfe2cf23
	;; [unrolled: 1-line block ×4, first 2 shown]
	v_fma_f64 v[154:155], v[125:126], -0.5, v[114:115]
	v_fma_f64 v[160:161], v[127:128], -0.5, v[114:115]
	;; [unrolled: 1-line block ×3, first 2 shown]
	v_add_f64 v[129:130], v[108:109], v[52:53]
	v_fma_f64 v[156:157], v[156:157], -0.5, v[112:113]
	v_add_f64 v[144:145], v[110:111], -v[82:83]
	v_add_f64 v[162:163], v[98:99], -v[90:91]
	v_add_f64 v[112:113], v[116:117], v[112:113]
	v_add_f64 v[114:115], v[118:119], v[114:115]
	v_add_f64 v[118:119], v[116:117], -v[104:105]
	v_add_f64 v[116:117], v[104:105], -v[116:117]
	;; [unrolled: 1-line block ×3, first 2 shown]
	v_fma_f64 v[133:134], v[133:134], -0.5, v[52:53]
	v_add_f64 v[168:169], v[170:171], v[168:169]
	v_add_f64 v[170:171], v[100:101], -v[92:93]
	v_fma_f64 v[52:53], v[138:139], -0.5, v[52:53]
	v_add_f64 v[138:139], v[178:179], v[176:177]
	s_mov_b32 s10, 0x372fe950
	s_mov_b32 s11, 0x3fd3c6ef
	v_add_f64 v[131:132], v[110:111], v[54:55]
	v_add_f64 v[146:147], v[108:109], -v[96:97]
	v_add_f64 v[148:149], v[96:97], -v[108:109]
	v_fma_f64 v[182:183], v[152:153], s[6:7], v[154:155]
	v_fma_f64 v[154:155], v[152:153], s[4:5], v[154:155]
	;; [unrolled: 1-line block ×6, first 2 shown]
	v_add_f64 v[125:126], v[96:97], -v[88:89]
	v_add_f64 v[164:165], v[80:81], -v[88:89]
	;; [unrolled: 1-line block ×3, first 2 shown]
	v_add_f64 v[96:97], v[96:97], v[129:130]
	v_add_f64 v[104:105], v[104:105], v[112:113]
	;; [unrolled: 1-line block ×3, first 2 shown]
	v_fma_f64 v[118:119], v[144:145], s[4:5], v[133:134]
	v_fma_f64 v[129:130], v[144:145], s[6:7], v[133:134]
	v_add_f64 v[116:117], v[170:171], v[116:117]
	v_fma_f64 v[133:134], v[162:163], s[6:7], v[52:53]
	v_fma_f64 v[52:53], v[162:163], s[4:5], v[52:53]
	v_add_f64 v[140:141], v[90:91], v[98:99]
	v_add_f64 v[142:143], v[82:83], v[110:111]
	v_add_f64 v[127:128], v[110:111], -v[98:99]
	v_add_f64 v[110:111], v[98:99], -v[110:111]
	v_add_f64 v[98:99], v[98:99], v[131:132]
	v_fma_f64 v[178:179], v[158:159], s[14:15], v[182:183]
	v_fma_f64 v[154:155], v[158:159], s[12:13], v[154:155]
	v_fma_f64 v[158:159], v[180:181], s[6:7], v[156:157]
	v_fma_f64 v[182:183], v[152:153], s[14:15], v[184:185]
	v_fma_f64 v[156:157], v[180:181], s[4:5], v[156:157]
	v_fma_f64 v[152:153], v[152:153], s[12:13], v[160:161]
	v_fma_f64 v[170:171], v[180:181], s[12:13], v[176:177]
	v_fma_f64 v[150:151], v[180:181], s[14:15], v[150:151]
	v_add_f64 v[160:161], v[56:57], v[40:41]
	v_add_f64 v[106:107], v[106:107], v[114:115]
	v_add_f64 v[114:115], v[164:165], v[146:147]
	v_add_f64 v[131:132], v[166:167], v[148:149]
	v_add_f64 v[88:89], v[88:89], v[96:97]
	v_add_f64 v[96:97], v[100:101], v[104:105]
	v_fma_f64 v[100:101], v[162:163], s[12:13], v[118:119]
	v_fma_f64 v[104:105], v[162:163], s[14:15], v[129:130]
	;; [unrolled: 1-line block ×4, first 2 shown]
	v_add_f64 v[108:109], v[108:109], -v[80:81]
	v_fma_f64 v[140:141], v[140:141], -0.5, v[54:55]
	v_add_f64 v[180:181], v[56:57], -v[84:85]
	v_add_f64 v[162:163], v[84:85], -v[68:69]
	v_fma_f64 v[176:177], v[168:169], s[10:11], v[178:179]
	v_add_f64 v[164:165], v[58:59], -v[86:87]
	v_fma_f64 v[158:159], v[174:175], s[12:13], v[158:159]
	v_fma_f64 v[178:179], v[138:139], s[10:11], v[182:183]
	;; [unrolled: 1-line block ×5, first 2 shown]
	v_add_f64 v[154:155], v[58:59], v[42:43]
	v_fma_f64 v[129:130], v[112:113], s[10:11], v[170:171]
	v_fma_f64 v[112:113], v[112:113], s[10:11], v[150:151]
	v_add_f64 v[168:169], v[68:69], v[84:85]
	v_add_f64 v[174:175], v[86:87], -v[70:71]
	v_add_f64 v[166:167], v[86:87], -v[58:59]
	s_mov_b32 s0, 0x9b97f4a8
	s_mov_b32 s1, 0x3fe9e377
	;; [unrolled: 1-line block ×6, first 2 shown]
	v_add_f64 v[172:173], v[82:83], -v[90:91]
	v_add_f64 v[186:187], v[90:91], -v[82:83]
	v_add_f64 v[90:91], v[90:91], v[98:99]
	v_mul_f64 v[133:134], v[176:177], s[12:13]
	v_add_f64 v[98:99], v[102:103], v[106:107]
	v_fma_f64 v[144:145], v[116:117], s[10:11], v[158:159]
	v_mul_f64 v[146:147], v[178:179], s[4:5]
	v_fma_f64 v[116:117], v[116:117], s[10:11], v[156:157]
	v_mul_f64 v[148:149], v[138:139], s[4:5]
	v_mul_f64 v[150:151], v[152:153], s[12:13]
	v_add_f64 v[156:157], v[84:85], -v[56:57]
	v_add_f64 v[158:159], v[70:71], v[86:87]
	v_add_f64 v[84:85], v[84:85], v[160:161]
	;; [unrolled: 1-line block ×5, first 2 shown]
	v_fma_f64 v[96:97], v[114:115], s[10:11], v[100:101]
	v_fma_f64 v[100:101], v[114:115], s[10:11], v[104:105]
	;; [unrolled: 1-line block ×4, first 2 shown]
	v_fma_f64 v[142:143], v[142:143], -0.5, v[54:55]
	v_fma_f64 v[182:183], v[108:109], s[6:7], v[140:141]
	v_fma_f64 v[140:141], v[108:109], s[4:5], v[140:141]
	s_waitcnt vmcnt(1)
	v_add_f64 v[154:155], v[44:45], v[72:73]
	v_add_f64 v[184:185], v[82:83], v[90:91]
	v_fma_f64 v[102:103], v[129:130], s[0:1], v[133:134]
	v_add_f64 v[133:134], v[76:77], v[56:57]
	v_add_f64 v[98:99], v[94:95], v[98:99]
	v_fma_f64 v[106:107], v[144:145], s[10:11], v[146:147]
	v_add_f64 v[146:147], v[50:51], v[66:67]
	v_fma_f64 v[114:115], v[116:117], s[18:19], v[148:149]
	v_fma_f64 v[118:119], v[112:113], s[16:17], v[150:151]
	v_add_f64 v[148:149], v[46:47], v[74:75]
	v_add_f64 v[150:151], v[48:49], v[64:65]
	;; [unrolled: 1-line block ×4, first 2 shown]
	v_add_f64 v[131:132], v[58:59], -v[78:79]
	v_add_f64 v[92:93], v[88:89], v[80:81]
	v_add_f64 v[86:87], v[80:81], -v[88:89]
	v_add_f64 v[58:59], v[78:79], v[58:59]
	v_add_f64 v[56:57], v[56:57], -v[76:77]
	v_fma_f64 v[158:159], v[158:159], -0.5, v[42:43]
	v_mul_f64 v[144:145], v[144:145], s[6:7]
	v_mul_f64 v[138:139], v[138:139], s[18:19]
	;; [unrolled: 1-line block ×3, first 2 shown]
	v_add_f64 v[94:95], v[96:97], v[102:103]
	v_add_f64 v[80:81], v[96:97], -v[102:103]
	v_add_f64 v[102:103], v[72:73], -v[44:45]
	;; [unrolled: 1-line block ×3, first 2 shown]
	v_add_f64 v[88:89], v[104:105], v[106:107]
	v_add_f64 v[104:105], v[64:65], -v[48:49]
	v_add_f64 v[84:85], v[100:101], v[118:119]
	v_add_f64 v[54:55], v[100:101], -v[118:119]
	v_fma_f64 v[100:101], v[148:149], -0.5, v[62:63]
	v_add_f64 v[90:91], v[52:53], v[114:115]
	v_add_f64 v[52:53], v[52:53], -v[114:115]
	v_fma_f64 v[96:97], v[146:147], -0.5, v[62:63]
	v_add_f64 v[114:115], v[172:173], v[127:128]
	v_fma_f64 v[118:119], v[125:126], s[4:5], v[142:143]
	v_fma_f64 v[127:128], v[125:126], s[6:7], v[142:143]
	v_fma_f64 v[142:143], v[125:126], s[14:15], v[182:183]
	v_fma_f64 v[125:126], v[125:126], s[12:13], v[140:141]
	v_add_f64 v[140:141], v[78:79], -v[70:71]
	v_add_f64 v[70:71], v[70:71], -v[78:79]
	v_add_f64 v[146:147], v[76:77], v[160:161]
	v_add_f64 v[148:149], v[78:79], v[170:171]
	v_fma_f64 v[78:79], v[150:151], -0.5, v[60:61]
	v_add_f64 v[150:151], v[74:75], -v[66:67]
	v_add_f64 v[160:161], v[46:47], -v[50:51]
	;; [unrolled: 1-line block ×5, first 2 shown]
	v_add_f64 v[76:77], v[186:187], v[110:111]
	v_fma_f64 v[110:111], v[154:155], -0.5, v[60:61]
	v_add_f64 v[154:155], v[66:67], -v[74:75]
	v_add_f64 v[172:173], v[50:51], -v[46:47]
	v_add_f64 v[182:183], v[66:67], -v[50:51]
	v_fma_f64 v[188:189], v[104:105], s[4:5], v[100:101]
	v_fma_f64 v[186:187], v[102:103], s[6:7], v[96:97]
	;; [unrolled: 1-line block ×7, first 2 shown]
	v_fma_f64 v[125:126], v[133:134], -0.5, v[40:41]
	v_fma_f64 v[96:97], v[102:103], s[4:5], v[96:97]
	v_add_f64 v[60:61], v[72:73], v[60:61]
	v_add_f64 v[62:63], v[74:75], v[62:63]
	v_add_f64 v[74:75], v[72:73], -v[64:65]
	v_add_f64 v[133:134], v[44:45], -v[48:49]
	v_add_f64 v[150:151], v[160:161], v[150:151]
	v_fma_f64 v[160:161], v[170:171], s[4:5], v[78:79]
	v_add_f64 v[72:73], v[64:65], -v[72:73]
	v_add_f64 v[142:143], v[48:49], -v[44:45]
	v_fma_f64 v[40:41], v[168:169], -0.5, v[40:41]
	v_fma_f64 v[78:79], v[170:171], s[6:7], v[78:79]
	v_fma_f64 v[42:43], v[58:59], -0.5, v[42:43]
	v_add_f64 v[154:155], v[172:173], v[154:155]
	v_fma_f64 v[172:173], v[182:183], s[6:7], v[110:111]
	v_fma_f64 v[188:189], v[102:103], s[14:15], v[188:189]
	;; [unrolled: 1-line block ×7, first 2 shown]
	v_add_f64 v[106:107], v[106:107], v[180:181]
	v_fma_f64 v[102:103], v[174:175], s[6:7], v[125:126]
	v_fma_f64 v[125:126], v[174:175], s[4:5], v[125:126]
	v_fma_f64 v[96:97], v[104:105], s[12:13], v[96:97]
	v_add_f64 v[58:59], v[64:65], v[60:61]
	v_add_f64 v[62:63], v[66:67], v[62:63]
	;; [unrolled: 1-line block ×4, first 2 shown]
	v_fma_f64 v[64:65], v[182:183], s[12:13], v[160:161]
	v_fma_f64 v[116:117], v[116:117], s[6:7], v[138:139]
	v_add_f64 v[72:73], v[142:143], v[72:73]
	v_fma_f64 v[108:109], v[131:132], s[4:5], v[40:41]
	v_fma_f64 v[40:41], v[131:132], s[6:7], v[40:41]
	;; [unrolled: 1-line block ×3, first 2 shown]
	v_mul_f64 v[142:143], v[152:153], s[16:17]
	v_fma_f64 v[74:75], v[170:171], s[12:13], v[172:173]
	v_fma_f64 v[133:134], v[154:155], s[10:11], v[188:189]
	;; [unrolled: 1-line block ×7, first 2 shown]
	v_add_f64 v[70:71], v[70:71], v[166:167]
	v_fma_f64 v[68:69], v[131:132], s[12:13], v[102:103]
	v_fma_f64 v[102:103], v[131:132], s[14:15], v[125:126]
	;; [unrolled: 1-line block ×3, first 2 shown]
	v_add_f64 v[48:49], v[48:49], v[58:59]
	v_fma_f64 v[58:59], v[56:57], s[6:7], v[158:159]
	v_fma_f64 v[131:132], v[162:163], s[4:5], v[42:43]
	;; [unrolled: 1-line block ×5, first 2 shown]
	v_add_f64 v[50:51], v[50:51], v[62:63]
	v_fma_f64 v[108:109], v[174:175], s[12:13], v[108:109]
	v_fma_f64 v[62:63], v[174:175], s[14:15], v[40:41]
	v_add_f64 v[158:159], v[8:9], v[28:29]
	v_fma_f64 v[112:113], v[112:113], s[14:15], v[142:143]
	v_fma_f64 v[74:75], v[72:73], s[10:11], v[74:75]
	v_mul_f64 v[150:151], v[133:134], s[4:5]
	v_add_f64 v[160:161], v[0:1], v[16:17]
	s_waitcnt vmcnt(0)
	v_add_f64 v[166:167], v[14:15], -v[6:7]
	v_mul_f64 v[144:145], v[104:105], s[12:13]
	v_add_f64 v[40:41], v[127:128], -v[129:130]
	v_fma_f64 v[152:153], v[162:163], s[12:13], v[152:153]
	v_add_f64 v[172:173], v[12:13], -v[4:5]
	v_fma_f64 v[138:139], v[66:67], s[10:11], v[68:69]
	v_fma_f64 v[102:103], v[66:67], s[10:11], v[102:103]
	;; [unrolled: 1-line block ×3, first 2 shown]
	v_mul_f64 v[66:67], v[100:101], s[4:5]
	v_fma_f64 v[72:73], v[60:61], s[10:11], v[78:79]
	v_mul_f64 v[78:79], v[96:97], s[12:13]
	v_add_f64 v[110:111], v[140:141], v[164:165]
	v_fma_f64 v[140:141], v[162:163], s[14:15], v[58:59]
	v_mul_f64 v[142:143], v[64:65], s[14:15]
	v_fma_f64 v[131:132], v[56:57], s[14:15], v[131:132]
	v_fma_f64 v[156:157], v[56:57], s[12:13], v[42:43]
	;; [unrolled: 1-line block ×3, first 2 shown]
	v_add_f64 v[42:43], v[118:119], -v[125:126]
	v_add_f64 v[60:61], v[118:119], v[125:126]
	v_mul_f64 v[154:155], v[74:75], s[6:7]
	v_fma_f64 v[74:75], v[74:75], s[10:11], v[150:151]
	v_fma_f64 v[106:107], v[106:107], s[10:11], v[62:63]
	v_mul_f64 v[100:101], v[100:101], s[18:19]
	v_add_f64 v[58:59], v[127:128], v[129:130]
	v_mul_f64 v[96:97], v[96:97], s[16:17]
	v_fma_f64 v[144:145], v[64:65], s[0:1], v[144:145]
	v_add_f64 v[150:151], v[44:45], v[48:49]
	v_add_f64 v[56:57], v[98:99], v[184:185]
	;; [unrolled: 1-line block ×3, first 2 shown]
	v_add_f64 v[50:51], v[184:185], -v[98:99]
	v_fma_f64 v[118:119], v[68:69], s[18:19], v[66:67]
	v_add_f64 v[98:99], v[14:15], v[34:35]
	v_fma_f64 v[125:126], v[72:73], s[16:17], v[78:79]
	v_add_f64 v[62:63], v[76:77], v[116:117]
	v_fma_f64 v[129:130], v[110:111], s[10:11], v[140:141]
	v_fma_f64 v[104:105], v[104:105], s[0:1], v[142:143]
	v_add_f64 v[142:143], v[6:7], v[38:39]
	v_fma_f64 v[131:132], v[70:71], s[10:11], v[131:132]
	v_add_f64 v[44:45], v[76:77], -v[116:117]
	v_fma_f64 v[140:141], v[70:71], s[10:11], v[156:157]
	v_add_f64 v[48:49], v[114:115], v[112:113]
	v_fma_f64 v[133:134], v[133:134], s[10:11], v[154:155]
	v_add_f64 v[70:71], v[138:139], -v[74:75]
	v_add_f64 v[76:77], v[138:139], v[74:75]
	v_add_f64 v[138:139], v[12:13], v[32:33]
	v_add_f64 v[46:47], v[114:115], -v[112:113]
	v_fma_f64 v[154:155], v[68:69], s[6:7], v[100:101]
	v_fma_f64 v[152:153], v[110:111], s[10:11], v[152:153]
	;; [unrolled: 1-line block ×3, first 2 shown]
	v_add_f64 v[64:65], v[150:151], v[146:147]
	v_add_f64 v[66:67], v[108:109], v[144:145]
	v_add_f64 v[68:69], v[108:109], -v[144:145]
	v_add_f64 v[78:79], v[102:103], v[118:119]
	v_add_f64 v[116:117], v[102:103], -v[118:119]
	;; [unrolled: 2-line block ×3, first 2 shown]
	v_add_f64 v[125:126], v[4:5], v[36:37]
	v_add_f64 v[110:111], v[129:130], v[104:105]
	v_add_f64 v[72:73], v[129:130], -v[104:105]
	v_fma_f64 v[129:130], v[142:143], -0.5, v[26:27]
	v_add_f64 v[142:143], v[32:33], -v[12:13]
	v_add_f64 v[114:115], v[146:147], -v[150:151]
	v_fma_f64 v[144:145], v[98:99], -0.5, v[26:27]
	v_add_f64 v[146:147], v[36:37], -v[4:5]
	v_add_f64 v[106:107], v[16:17], v[20:21]
	v_add_f64 v[108:109], v[127:128], v[148:149]
	;; [unrolled: 1-line block ×3, first 2 shown]
	v_add_f64 v[74:75], v[131:132], -v[133:134]
	v_add_f64 v[164:165], v[2:3], v[18:19]
	v_add_f64 v[96:97], v[131:132], v[133:134]
	v_add_f64 v[102:103], v[148:149], -v[127:128]
	v_fma_f64 v[127:128], v[138:139], -0.5, v[24:25]
	v_add_f64 v[131:132], v[38:39], -v[6:7]
	v_add_f64 v[133:134], v[34:35], -v[14:15]
	v_add_f64 v[150:151], v[18:19], v[22:23]
	v_add_f64 v[98:99], v[140:141], v[154:155]
	v_add_f64 v[104:105], v[140:141], -v[154:155]
	v_fma_f64 v[154:155], v[158:159], -0.5, v[20:21]
	v_fma_f64 v[125:126], v[125:126], -0.5, v[24:25]
	v_add_f64 v[158:159], v[34:35], -v[38:39]
	v_add_f64 v[138:139], v[38:39], -v[34:35]
	;; [unrolled: 1-line block ×3, first 2 shown]
	v_fma_f64 v[168:169], v[142:143], s[4:5], v[129:130]
	v_fma_f64 v[129:130], v[142:143], s[6:7], v[129:130]
	v_fma_f64 v[20:21], v[160:161], -0.5, v[20:21]
	v_fma_f64 v[148:149], v[146:147], s[6:7], v[144:145]
	v_fma_f64 v[144:145], v[146:147], s[4:5], v[144:145]
	v_add_f64 v[106:107], v[28:29], v[106:107]
	v_fma_f64 v[160:161], v[162:163], -0.5, v[22:23]
	v_add_f64 v[26:27], v[38:39], v[26:27]
	v_fma_f64 v[22:23], v[164:165], -0.5, v[22:23]
	v_add_f64 v[38:39], v[36:37], -v[32:33]
	v_add_f64 v[162:163], v[4:5], -v[12:13]
	v_add_f64 v[24:25], v[36:37], v[24:25]
	v_fma_f64 v[164:165], v[131:132], s[4:5], v[127:128]
	v_add_f64 v[36:37], v[32:33], -v[36:37]
	v_add_f64 v[150:151], v[30:31], v[150:151]
	v_add_f64 v[170:171], v[30:31], -v[10:11]
	v_add_f64 v[178:179], v[18:19], -v[2:3]
	v_fma_f64 v[127:128], v[131:132], s[6:7], v[127:128]
	v_fma_f64 v[174:175], v[133:134], s[6:7], v[125:126]
	v_add_f64 v[158:159], v[166:167], v[158:159]
	v_fma_f64 v[125:126], v[133:134], s[4:5], v[125:126]
	v_add_f64 v[138:139], v[140:141], v[138:139]
	v_fma_f64 v[166:167], v[146:147], s[14:15], v[168:169]
	v_fma_f64 v[129:130], v[146:147], s[12:13], v[129:130]
	v_add_f64 v[176:177], v[16:17], -v[28:29]
	v_fma_f64 v[140:141], v[142:143], s[14:15], v[148:149]
	v_fma_f64 v[142:143], v[142:143], s[12:13], v[144:145]
	v_add_f64 v[148:149], v[28:29], -v[16:17]
	v_add_f64 v[168:169], v[18:19], -v[30:31]
	;; [unrolled: 1-line block ×4, first 2 shown]
	v_add_f64 v[30:31], v[8:9], v[106:107]
	v_add_f64 v[38:39], v[162:163], v[38:39]
	v_add_f64 v[28:29], v[28:29], -v[8:9]
	v_fma_f64 v[106:107], v[133:134], s[12:13], v[164:165]
	v_add_f64 v[24:25], v[32:33], v[24:25]
	v_add_f64 v[26:27], v[34:35], v[26:27]
	;; [unrolled: 1-line block ×4, first 2 shown]
	v_add_f64 v[144:145], v[0:1], -v[8:9]
	v_fma_f64 v[34:35], v[131:132], s[12:13], v[174:175]
	v_add_f64 v[8:9], v[8:9], -v[0:1]
	v_fma_f64 v[150:151], v[170:171], s[6:7], v[20:21]
	v_fma_f64 v[20:21], v[170:171], s[4:5], v[20:21]
	;; [unrolled: 1-line block ×10, first 2 shown]
	v_add_f64 v[133:134], v[2:3], -v[10:11]
	v_fma_f64 v[138:139], v[16:17], s[6:7], v[160:161]
	v_add_f64 v[10:11], v[10:11], -v[2:3]
	v_fma_f64 v[142:143], v[16:17], s[4:5], v[160:161]
	v_fma_f64 v[106:107], v[38:39], s[10:11], v[106:107]
	v_add_f64 v[12:13], v[12:13], v[24:25]
	v_fma_f64 v[24:25], v[28:29], s[4:5], v[22:23]
	v_fma_f64 v[22:23], v[28:29], s[6:7], v[22:23]
	v_add_f64 v[14:15], v[14:15], v[26:27]
	v_add_f64 v[30:31], v[0:1], v[30:31]
	v_fma_f64 v[26:27], v[32:33], s[10:11], v[34:35]
	v_add_f64 v[8:9], v[8:9], v[148:149]
	v_add_f64 v[34:35], v[144:145], v[176:177]
	v_fma_f64 v[20:21], v[178:179], s[14:15], v[20:21]
	v_fma_f64 v[32:33], v[32:33], s[10:11], v[125:126]
	v_mul_f64 v[125:126], v[129:130], s[4:5]
	v_fma_f64 v[146:147], v[170:171], s[12:13], v[146:147]
	v_mul_f64 v[144:145], v[140:141], s[12:13]
	;; [unrolled: 2-line block ×3, first 2 shown]
	v_fma_f64 v[154:155], v[170:171], s[14:15], v[154:155]
	v_fma_f64 v[38:39], v[38:39], s[10:11], v[127:128]
	v_mul_f64 v[127:128], v[131:132], s[12:13]
	v_add_f64 v[133:134], v[133:134], v[168:169]
	v_fma_f64 v[138:139], v[28:29], s[14:15], v[138:139]
	v_add_f64 v[10:11], v[10:11], v[18:19]
	v_mul_f64 v[18:19], v[106:107], s[14:15]
	v_add_f64 v[12:13], v[4:5], v[12:13]
	v_fma_f64 v[4:5], v[16:17], s[14:15], v[24:25]
	v_fma_f64 v[16:17], v[16:17], s[12:13], v[22:23]
	v_mul_hi_u32 v0, 0xaaaaaaab, v124
	v_fma_f64 v[28:29], v[28:29], s[12:13], v[142:143]
	v_mul_f64 v[24:25], v[26:27], s[6:7]
	v_mul_f64 v[22:23], v[129:130], s[18:19]
	;; [unrolled: 1-line block ×3, first 2 shown]
	v_fma_f64 v[20:21], v[8:9], s[10:11], v[20:21]
	v_add_f64 v[36:37], v[2:3], v[36:37]
	v_fma_f64 v[125:126], v[32:33], s[18:19], v[125:126]
	v_lshrrev_b32_e32 v0, 3, v0
	v_fma_f64 v[129:130], v[106:107], s[0:1], v[144:145]
	v_fma_f64 v[142:143], v[34:35], s[10:11], v[146:147]
	;; [unrolled: 1-line block ×6, first 2 shown]
	v_mul_lo_u32 v2, v0, 12
	v_fma_f64 v[138:139], v[133:134], s[10:11], v[138:139]
	v_add_f64 v[146:147], v[6:7], v[14:15]
	v_fma_f64 v[140:141], v[140:141], s[0:1], v[18:19]
	v_add_f64 v[0:1], v[12:13], v[30:31]
	v_fma_f64 v[148:149], v[10:11], s[10:11], v[4:5]
	v_fma_f64 v[150:151], v[10:11], s[10:11], v[16:17]
	v_add_f64 v[14:15], v[30:31], -v[12:13]
	v_sub_nc_u32_e32 v10, v124, v2
	v_fma_f64 v[24:25], v[162:163], s[10:11], v[24:25]
	v_fma_f64 v[22:23], v[32:33], s[6:7], v[22:23]
	;; [unrolled: 1-line block ×4, first 2 shown]
	v_mul_u32_u24_e32 v18, 0x96, v10
	v_add_f64 v[10:11], v[20:21], v[125:126]
	v_add_f64 v[16:17], v[20:21], -v[125:126]
	v_mul_u32_u24_e32 v21, 10, v120
	v_add_f64 v[2:3], v[142:143], v[129:130]
	v_lshlrev_b32_e32 v20, 3, v18
	v_add_f64 v[8:9], v[144:145], v[26:27]
	v_add_f64 v[4:5], v[142:143], -v[129:130]
	v_add_f64 v[12:13], v[34:35], v[127:128]
	v_add_f64 v[6:7], v[144:145], -v[26:27]
	v_add_nc_u32_e32 v142, 0, v20
	v_add_f64 v[18:19], v[34:35], -v[127:128]
	v_add_f64 v[126:127], v[138:139], v[140:141]
	v_add_f64 v[128:129], v[138:139], -v[140:141]
	v_add_nc_u32_e32 v140, 5, v120
	v_lshl_add_u32 v141, v21, 3, v142
	ds_write_b128 v141, v[92:95]
	ds_write_b128 v141, v[88:91] offset:16
	ds_write_b128 v141, v[84:87] offset:32
	;; [unrolled: 1-line block ×10, first 2 shown]
	v_lshlrev_b32_e32 v0, 3, v120
	v_lshlrev_b32_e32 v91, 2, v120
	v_mov_b32_e32 v92, 0
	v_add_f64 v[124:125], v[146:147], v[36:37]
	v_add_f64 v[130:131], v[148:149], -v[24:25]
	v_add3_u32 v121, 0, v0, v20
	v_add_f64 v[132:133], v[148:149], v[24:25]
	v_add_f64 v[134:135], v[150:151], v[22:23]
	v_add_f64 v[145:146], v[36:37], -v[146:147]
	v_add_f64 v[147:148], v[150:151], -v[22:23]
	;; [unrolled: 1-line block ×3, first 2 shown]
	v_add_f64 v[100:101], v[152:153], v[156:157]
	v_add_f64 v[143:144], v[28:29], v[32:33]
	v_add_nc_u32_e32 v138, v142, v0
	v_add_f64 v[106:107], v[152:153], -v[156:157]
	v_lshl_add_u32 v139, v136, 3, v142
	ds_write_b128 v141, v[8:11] offset:816
	ds_write_b128 v141, v[12:15] offset:832
	;; [unrolled: 1-line block ×4, first 2 shown]
	s_waitcnt lgkmcnt(0)
	s_barrier
	buffer_gl0_inv
	ds_read2_b64 v[4:7], v121 offset0:25 offset1:30
	ds_read2_b64 v[16:19], v121 offset0:60 offset1:65
	;; [unrolled: 1-line block ×6, first 2 shown]
	ds_read_b64 v[93:94], v138
	ds_read_b64 v[112:113], v139
	ds_read2_b64 v[68:71], v121 offset0:70 offset1:75
	ds_read2_b64 v[52:55], v121 offset0:100 offset1:105
	ds_read2_b64 v[32:35], v121 offset0:130 offset1:135
	ds_read2_b64 v[0:3], v121 offset0:15 offset1:20
	ds_read2_b64 v[28:31], v121 offset0:50 offset1:55
	ds_read2_b64 v[24:27], v121 offset0:80 offset1:85
	ds_read2_b64 v[20:23], v121 offset0:110 offset1:115
	ds_read2_b64 v[8:11], v121 offset0:140 offset1:145
	s_waitcnt lgkmcnt(0)
	s_barrier
	buffer_gl0_inv
	ds_write_b128 v141, v[56:59]
	ds_write_b128 v141, v[60:63] offset:16
	ds_write_b128 v141, v[48:51] offset:32
	;; [unrolled: 1-line block ×5, first 2 shown]
	v_lshlrev_b64 v[40:41], 4, v[91:92]
	v_lshlrev_b32_e32 v91, 2, v140
	ds_write_b128 v141, v[96:99] offset:416
	ds_write_b128 v141, v[100:103] offset:432
	;; [unrolled: 1-line block ×4, first 2 shown]
	v_lshlrev_b64 v[42:43], 4, v[91:92]
	ds_write_b128 v141, v[124:127] offset:800
	ds_write_b128 v141, v[132:135] offset:816
	;; [unrolled: 1-line block ×5, first 2 shown]
	s_waitcnt lgkmcnt(0)
	s_barrier
	buffer_gl0_inv
	v_add_co_u32 v42, s0, s8, v42
	v_add_co_ci_u32_e64 v43, s0, s9, v43, s0
	v_add_co_u32 v40, s0, s8, v40
	v_add_co_ci_u32_e64 v41, s0, s9, v41, s0
	s_clause 0x4
	global_load_dwordx4 v[95:98], v[42:43], off
	global_load_dwordx4 v[105:108], v[40:41], off offset:16
	global_load_dwordx4 v[114:117], v[42:43], off offset:16
	global_load_dwordx4 v[130:133], v[40:41], off offset:32
	global_load_dwordx4 v[145:148], v[42:43], off offset:32
	v_add_nc_u32_e32 v141, 20, v120
	v_add_nc_u32_e32 v111, 25, v120
	s_clause 0x2
	global_load_dwordx4 v[149:152], v[40:41], off offset:48
	global_load_dwordx4 v[48:51], v[40:41], off
	global_load_dwordx4 v[153:156], v[42:43], off offset:48
	v_and_b32_e32 v44, 0xff, v141
	v_and_b32_e32 v45, 0xff, v111
	v_lshl_add_u32 v137, v137, 3, v142
	v_mul_lo_u16 v44, 0xcd, v44
	v_mul_lo_u16 v45, 0xcd, v45
	v_lshrrev_b16 v42, 11, v44
	v_lshrrev_b16 v43, 11, v45
	v_mul_lo_u16 v42, v42, 10
	v_mul_lo_u16 v40, v43, 10
	v_sub_nc_u16 v41, v141, v42
	v_sub_nc_u16 v40, v111, v40
	v_and_b32_e32 v144, 0xff, v41
	v_and_b32_e32 v143, 0xff, v40
	v_lshlrev_b32_e32 v40, 6, v144
	v_lshlrev_b32_e32 v44, 6, v143
	s_clause 0x7
	global_load_dwordx4 v[88:91], v40, s[8:9]
	global_load_dwordx4 v[84:87], v44, s[8:9]
	global_load_dwordx4 v[80:83], v40, s[8:9] offset:16
	global_load_dwordx4 v[60:63], v44, s[8:9] offset:16
	;; [unrolled: 1-line block ×6, first 2 shown]
	ds_read2_b64 v[101:104], v121 offset0:35 offset1:45
	ds_read2_b64 v[124:127], v121 offset0:60 offset1:65
	;; [unrolled: 1-line block ×5, first 2 shown]
	s_waitcnt vmcnt(15) lgkmcnt(4)
	v_mul_f64 v[99:100], v[101:102], v[97:98]
	v_mul_f64 v[128:129], v[76:77], v[97:98]
	s_waitcnt vmcnt(14) lgkmcnt(3)
	v_mul_f64 v[134:135], v[124:125], v[107:108]
	v_mul_f64 v[109:110], v[103:104], v[97:98]
	s_waitcnt vmcnt(13)
	v_mul_f64 v[169:170], v[126:127], v[116:117]
	v_mul_f64 v[173:174], v[16:17], v[107:108]
	;; [unrolled: 1-line block ×5, first 2 shown]
	s_waitcnt vmcnt(11)
	v_mul_f64 v[183:184], v[66:67], v[147:148]
	v_mul_f64 v[179:180], v[68:69], v[107:108]
	s_waitcnt vmcnt(10)
	v_mul_f64 v[187:188], v[36:37], v[151:152]
	v_fma_f64 v[118:119], v[76:77], v[95:96], v[99:100]
	s_waitcnt lgkmcnt(2)
	v_mul_f64 v[99:100], v[157:158], v[107:108]
	v_fma_f64 v[101:102], v[101:102], v[95:96], -v[128:129]
	v_mul_f64 v[128:129], v[159:160], v[116:117]
	v_fma_f64 v[116:117], v[16:17], v[105:106], v[134:135]
	s_waitcnt lgkmcnt(1)
	v_mul_f64 v[134:135], v[163:164], v[147:148]
	v_fma_f64 v[78:79], v[78:79], v[95:96], v[109:110]
	v_fma_f64 v[109:110], v[18:19], v[114:115], v[169:170]
	ds_read2_b64 v[169:172], v121 offset0:120 offset1:125
	ds_read2_b64 v[16:19], v121 offset0:25 offset1:30
	v_fma_f64 v[107:108], v[124:125], v[105:106], -v[173:174]
	v_mul_f64 v[124:125], v[64:65], v[132:133]
	ds_read2_b64 v[173:176], v121 offset0:130 offset1:135
	v_fma_f64 v[76:77], v[103:104], v[95:96], -v[97:98]
	v_mul_f64 v[97:98], v[161:162], v[132:133]
	v_fma_f64 v[103:104], v[126:127], v[114:115], -v[177:178]
	s_waitcnt lgkmcnt(3)
	v_mul_f64 v[177:178], v[165:166], v[132:133]
	v_mul_f64 v[132:133], v[52:53], v[132:133]
	v_fma_f64 v[95:96], v[157:158], v[105:106], -v[179:180]
	v_mul_f64 v[179:180], v[167:168], v[147:148]
	v_mul_f64 v[147:148], v[54:55], v[147:148]
	v_fma_f64 v[99:100], v[68:69], v[105:106], v[99:100]
	v_fma_f64 v[68:69], v[159:160], v[114:115], -v[181:182]
	v_fma_f64 v[70:71], v[70:71], v[114:115], v[128:129]
	v_fma_f64 v[114:115], v[163:164], v[145:146], -v[183:184]
	v_fma_f64 v[126:127], v[66:67], v[145:146], v[134:135]
	s_waitcnt lgkmcnt(2)
	v_mul_f64 v[181:182], v[169:170], v[151:152]
	s_waitcnt vmcnt(8)
	v_mul_f64 v[66:67], v[38:39], v[155:156]
	s_waitcnt lgkmcnt(1)
	v_mul_f64 v[183:184], v[18:19], v[50:51]
	v_mul_f64 v[185:186], v[171:172], v[155:156]
	s_waitcnt lgkmcnt(0)
	v_mul_f64 v[189:190], v[173:174], v[151:152]
	ds_read2_b64 v[157:160], v121 offset0:50 offset1:55
	v_mul_f64 v[151:152], v[32:33], v[151:152]
	v_fma_f64 v[124:125], v[161:162], v[130:131], -v[124:125]
	ds_read2_b64 v[161:164], v121 offset0:80 offset1:85
	v_fma_f64 v[128:129], v[64:65], v[130:131], v[97:98]
	v_fma_f64 v[105:106], v[52:53], v[130:131], v[177:178]
	v_fma_f64 v[64:65], v[165:166], v[130:131], -v[132:133]
	v_mul_f64 v[165:166], v[175:176], v[155:156]
	v_mul_f64 v[155:156], v[34:35], v[155:156]
	v_fma_f64 v[97:98], v[54:55], v[145:146], v[179:180]
	v_fma_f64 v[52:53], v[167:168], v[145:146], -v[147:148]
	ds_read2_b64 v[145:148], v121 offset0:110 offset1:115
	ds_read_b64 v[167:168], v139
	v_fma_f64 v[130:131], v[36:37], v[149:150], v[181:182]
	v_fma_f64 v[36:37], v[169:170], v[149:150], -v[187:188]
	v_fma_f64 v[134:135], v[171:172], v[153:154], -v[66:67]
	s_waitcnt vmcnt(7) lgkmcnt(3)
	v_mul_f64 v[169:170], v[157:158], v[90:91]
	v_mul_f64 v[171:172], v[28:29], v[90:91]
	v_fma_f64 v[90:91], v[6:7], v[48:49], v[183:184]
	s_waitcnt vmcnt(6)
	v_mul_f64 v[177:178], v[159:160], v[86:87]
	v_mul_f64 v[86:87], v[30:31], v[86:87]
	;; [unrolled: 1-line block ×3, first 2 shown]
	v_fma_f64 v[132:133], v[38:39], v[153:154], v[185:186]
	v_fma_f64 v[38:39], v[32:33], v[149:150], v[189:190]
	s_waitcnt vmcnt(5) lgkmcnt(2)
	v_mul_f64 v[179:180], v[161:162], v[82:83]
	v_fma_f64 v[54:55], v[173:174], v[149:150], -v[151:152]
	v_mul_f64 v[82:83], v[24:25], v[82:83]
	s_waitcnt vmcnt(4)
	v_mul_f64 v[149:150], v[163:164], v[62:63]
	v_fma_f64 v[32:33], v[34:35], v[153:154], v[165:166]
	ds_read_b64 v[165:166], v138
	v_fma_f64 v[66:67], v[175:176], v[153:154], -v[155:156]
	v_mul_f64 v[62:63], v[26:27], v[62:63]
	s_waitcnt vmcnt(3) lgkmcnt(2)
	v_mul_f64 v[151:152], v[145:146], v[74:75]
	v_mul_f64 v[153:154], v[20:21], v[74:75]
	s_waitcnt lgkmcnt(1)
	v_mul_f64 v[173:174], v[167:168], v[50:51]
	s_waitcnt vmcnt(2)
	v_mul_f64 v[155:156], v[147:148], v[58:59]
	v_add_f64 v[175:176], v[99:100], v[105:106]
	v_fma_f64 v[74:75], v[28:29], v[88:89], v[169:170]
	v_fma_f64 v[28:29], v[157:158], v[88:89], -v[171:172]
	v_add_f64 v[88:89], v[90:91], v[130:131]
	v_add_f64 v[157:158], v[116:117], v[128:129]
	v_fma_f64 v[34:35], v[159:160], v[84:85], -v[86:87]
	v_fma_f64 v[159:160], v[18:19], v[48:49], -v[6:7]
	v_add_f64 v[169:170], v[109:110], v[126:127]
	v_fma_f64 v[30:31], v[30:31], v[84:85], v[177:178]
	v_fma_f64 v[84:85], v[24:25], v[80:81], v[179:180]
	v_add_f64 v[171:172], v[126:127], -v[132:133]
	v_fma_f64 v[80:81], v[161:162], v[80:81], -v[82:83]
	v_fma_f64 v[82:83], v[26:27], v[60:61], v[149:150]
	v_add_f64 v[26:27], v[118:119], v[132:133]
	v_mul_f64 v[149:150], v[22:23], v[58:59]
	v_add_f64 v[179:180], v[78:79], v[32:33]
	v_fma_f64 v[58:59], v[163:164], v[60:61], -v[62:63]
	v_fma_f64 v[86:87], v[20:21], v[72:73], v[151:152]
	v_add_f64 v[20:21], v[93:94], v[90:91]
	v_fma_f64 v[6:7], v[112:113], v[48:49], v[173:174]
	v_add_f64 v[60:61], v[12:13], v[118:119]
	v_mul_f64 v[62:63], v[112:113], v[50:51]
	v_add_f64 v[151:152], v[107:108], -v[124:125]
	v_fma_f64 v[18:19], v[145:146], v[72:73], -v[153:154]
	v_add_f64 v[112:113], v[90:91], -v[116:117]
	v_fma_f64 v[88:89], v[88:89], -0.5, v[93:94]
	v_add_f64 v[145:146], v[130:131], -v[128:129]
	v_fma_f64 v[93:94], v[157:158], -0.5, v[93:94]
	;; [unrolled: 2-line block ×3, first 2 shown]
	v_add_f64 v[163:164], v[101:102], -v[134:135]
	v_fma_f64 v[72:73], v[22:23], v[56:57], v[155:156]
	v_add_f64 v[153:154], v[118:119], -v[109:110]
	v_add_f64 v[155:156], v[132:133], -v[126:127]
	;; [unrolled: 1-line block ×3, first 2 shown]
	v_fma_f64 v[26:27], v[26:27], -0.5, v[12:13]
	ds_read2_b64 v[22:25], v121 offset0:140 offset1:145
	v_fma_f64 v[50:51], v[147:148], v[56:57], -v[149:150]
	v_add_f64 v[149:150], v[109:110], -v[118:119]
	v_add_f64 v[56:57], v[116:117], -v[90:91]
	v_add_f64 v[20:21], v[20:21], v[116:117]
	v_add_f64 v[173:174], v[6:7], v[38:39]
	;; [unrolled: 1-line block ×3, first 2 shown]
	v_fma_f64 v[12:13], v[167:168], v[48:49], -v[62:63]
	v_add_f64 v[147:148], v[128:129], -v[130:131]
	v_add_f64 v[181:182], v[14:15], v[6:7]
	v_fma_f64 v[175:176], v[175:176], -0.5, v[14:15]
	v_fma_f64 v[48:49], v[151:152], s[6:7], v[88:89]
	v_fma_f64 v[62:63], v[151:152], s[4:5], v[88:89]
	v_add_f64 v[112:113], v[112:113], v[145:146]
	v_fma_f64 v[145:146], v[157:158], s[4:5], v[93:94]
	v_fma_f64 v[93:94], v[157:158], s[6:7], v[93:94]
	;; [unrolled: 1-line block ×4, first 2 shown]
	v_add_f64 v[90:91], v[90:91], -v[130:131]
	v_add_f64 v[153:154], v[153:154], v[155:156]
	s_waitcnt vmcnt(1) lgkmcnt(0)
	v_mul_f64 v[177:178], v[22:23], v[42:43]
	v_fma_f64 v[155:156], v[169:170], s[6:7], v[26:27]
	s_waitcnt vmcnt(0)
	v_mul_f64 v[88:89], v[24:25], v[46:47]
	v_fma_f64 v[26:27], v[169:170], s[4:5], v[26:27]
	v_mul_f64 v[46:47], v[10:11], v[46:47]
	v_mul_f64 v[42:43], v[8:9], v[42:43]
	v_add_f64 v[149:150], v[149:150], v[171:172]
	v_fma_f64 v[171:172], v[173:174], -0.5, v[14:15]
	v_add_f64 v[173:174], v[95:96], -v[64:65]
	v_add_f64 v[183:184], v[20:21], v[128:129]
	v_add_f64 v[60:61], v[60:61], v[126:127]
	;; [unrolled: 1-line block ×3, first 2 shown]
	v_add_f64 v[109:110], v[109:110], -v[126:127]
	v_fma_f64 v[48:49], v[157:158], s[12:13], v[48:49]
	v_fma_f64 v[62:63], v[157:158], s[14:15], v[62:63]
	v_add_f64 v[157:158], v[12:13], -v[54:55]
	v_fma_f64 v[145:146], v[151:152], s[12:13], v[145:146]
	v_fma_f64 v[93:94], v[151:152], s[14:15], v[93:94]
	;; [unrolled: 1-line block ×4, first 2 shown]
	v_add_f64 v[161:162], v[105:106], -v[38:39]
	v_fma_f64 v[20:21], v[8:9], v[40:41], v[177:178]
	v_fma_f64 v[8:9], v[163:164], s[12:13], v[155:156]
	v_add_f64 v[155:156], v[99:100], -v[6:7]
	v_fma_f64 v[26:27], v[163:164], s[14:15], v[26:27]
	v_fma_f64 v[14:15], v[10:11], v[44:45], v[88:89]
	v_fma_f64 v[10:11], v[179:180], -0.5, v[0:1]
	v_add_f64 v[163:164], v[68:69], -v[52:53]
	v_fma_f64 v[88:89], v[24:25], v[44:45], -v[46:47]
	v_add_f64 v[44:45], v[181:182], v[99:100]
	v_fma_f64 v[56:57], v[22:23], v[40:41], -v[42:43]
	v_fma_f64 v[40:41], v[173:174], s[6:7], v[171:172]
	v_add_f64 v[42:43], v[6:7], -v[99:100]
	v_add_f64 v[46:47], v[38:39], -v[105:106]
	v_add_f64 v[169:170], v[183:184], v[130:131]
	v_add_f64 v[60:61], v[60:61], v[132:133]
	v_fma_f64 v[177:178], v[157:158], s[4:5], v[175:176]
	v_fma_f64 v[145:146], v[112:113], s[10:11], v[145:146]
	;; [unrolled: 1-line block ×7, first 2 shown]
	v_add_f64 v[153:154], v[70:71], -v[78:79]
	v_fma_f64 v[8:9], v[149:150], s[10:11], v[8:9]
	v_add_f64 v[147:148], v[155:156], v[161:162]
	v_fma_f64 v[26:27], v[149:150], s[10:11], v[26:27]
	v_fma_f64 v[149:150], v[173:174], s[4:5], v[171:172]
	v_add_f64 v[155:156], v[97:98], -v[32:33]
	v_fma_f64 v[161:162], v[163:164], s[6:7], v[10:11]
	v_add_f64 v[171:172], v[76:77], -v[66:67]
	v_fma_f64 v[10:11], v[163:164], s[4:5], v[10:11]
	v_add_f64 v[179:180], v[70:71], v[97:98]
	v_add_f64 v[44:45], v[44:45], v[105:106]
	;; [unrolled: 1-line block ×3, first 2 shown]
	ds_read2_b64 v[22:25], v121 offset0:5 offset1:10
	v_fma_f64 v[151:152], v[157:158], s[12:13], v[40:41]
	v_add_f64 v[46:47], v[42:43], v[46:47]
	v_fma_f64 v[177:178], v[173:174], s[12:13], v[177:178]
	ds_read2_b64 v[40:43], v121 offset0:15 offset1:20
	s_waitcnt lgkmcnt(0)
	s_barrier
	buffer_gl0_inv
	ds_write2_b64 v121, v[169:170], v[60:61] offset1:5
	ds_write2_b64 v121, v[145:146], v[167:168] offset0:10 offset1:15
	ds_write2_b64 v121, v[48:49], v[8:9] offset0:20 offset1:25
	v_add_f64 v[8:9], v[74:75], v[20:21]
	ds_write2_b64 v121, v[62:63], v[26:27] offset0:30 offset1:35
	ds_write2_b64 v121, v[93:94], v[112:113] offset0:40 offset1:45
	v_add_f64 v[26:27], v[82:83], v[72:73]
	v_add_f64 v[48:49], v[30:31], v[14:15]
	v_fma_f64 v[60:61], v[157:158], s[14:15], v[149:150]
	v_add_f64 v[93:94], v[153:154], v[155:156]
	v_fma_f64 v[112:113], v[171:172], s[12:13], v[161:162]
	v_fma_f64 v[10:11], v[171:172], s[14:15], v[10:11]
	v_fma_f64 v[149:150], v[179:180], -0.5, v[0:1]
	v_add_f64 v[44:45], v[44:45], v[38:39]
	v_fma_f64 v[145:146], v[157:158], s[6:7], v[175:176]
	v_add_f64 v[157:158], v[2:3], v[74:75]
	v_fma_f64 v[161:162], v[181:182], -0.5, v[2:3]
	v_add_f64 v[167:168], v[28:29], -v[56:57]
	v_fma_f64 v[62:63], v[147:148], s[10:11], v[151:152]
	v_fma_f64 v[151:152], v[46:47], s[10:11], v[177:178]
	v_add_f64 v[177:178], v[80:81], -v[18:19]
	v_add_f64 v[153:154], v[78:79], -v[70:71]
	;; [unrolled: 1-line block ×4, first 2 shown]
	v_fma_f64 v[2:3], v[8:9], -0.5, v[2:3]
	v_add_f64 v[175:176], v[20:21], -v[86:87]
	v_add_f64 v[8:9], v[84:85], -v[74:75]
	;; [unrolled: 1-line block ×3, first 2 shown]
	v_fma_f64 v[26:27], v[26:27], -0.5, v[4:5]
	v_fma_f64 v[48:49], v[48:49], -0.5, v[4:5]
	v_add_f64 v[181:182], v[34:35], -v[88:89]
	v_fma_f64 v[60:61], v[147:148], s[10:11], v[60:61]
	v_fma_f64 v[112:113], v[93:94], s[10:11], v[112:113]
	v_add_f64 v[147:148], v[58:59], -v[50:51]
	v_fma_f64 v[10:11], v[93:94], s[10:11], v[10:11]
	v_fma_f64 v[93:94], v[171:172], s[6:7], v[149:150]
	v_add_f64 v[4:5], v[4:5], v[30:31]
	ds_write_b64 v121, v[44:45] offset:400
	v_fma_f64 v[44:45], v[173:174], s[14:15], v[145:146]
	v_add_f64 v[0:1], v[0:1], v[78:79]
	v_add_f64 v[145:146], v[157:158], v[84:85]
	v_fma_f64 v[157:158], v[167:168], s[4:5], v[161:162]
	ds_write_b64 v121, v[151:152] offset:480
	ds_write_b64 v121, v[62:63] offset:560
	v_fma_f64 v[149:150], v[171:172], s[4:5], v[149:150]
	v_add_f64 v[62:63], v[153:154], v[155:156]
	v_add_f64 v[153:154], v[30:31], -v[82:83]
	v_fma_f64 v[151:152], v[177:178], s[6:7], v[2:3]
	v_fma_f64 v[2:3], v[177:178], s[4:5], v[2:3]
	v_add_f64 v[155:156], v[14:15], -v[72:73]
	v_add_f64 v[169:170], v[169:170], v[175:176]
	v_add_f64 v[8:9], v[8:9], v[179:180]
	v_add_f64 v[175:176], v[82:83], -v[30:31]
	v_fma_f64 v[173:174], v[181:182], s[4:5], v[26:27]
	v_add_f64 v[179:180], v[72:73], -v[14:15]
	v_fma_f64 v[161:162], v[167:168], s[6:7], v[161:162]
	v_fma_f64 v[183:184], v[147:148], s[6:7], v[48:49]
	;; [unrolled: 1-line block ×4, first 2 shown]
	v_add_f64 v[4:5], v[4:5], v[82:83]
	v_fma_f64 v[26:27], v[181:182], s[6:7], v[26:27]
	v_fma_f64 v[44:45], v[46:47], s[10:11], v[44:45]
	v_add_f64 v[0:1], v[0:1], v[70:71]
	v_add_f64 v[145:146], v[145:146], v[86:87]
	v_fma_f64 v[157:158], v[177:178], s[12:13], v[157:158]
	ds_write_b64 v137, v[60:61]
	v_fma_f64 v[60:61], v[163:164], s[12:13], v[149:150]
	v_lshl_add_u32 v163, v144, 3, v142
	ds_write2_b64 v121, v[112:113], v[10:11] offset0:75 offset1:85
	v_fma_f64 v[151:152], v[167:168], s[12:13], v[151:152]
	v_fma_f64 v[2:3], v[167:168], s[14:15], v[2:3]
	v_add_f64 v[153:154], v[153:154], v[155:156]
	v_add_f64 v[155:156], v[165:166], v[159:160]
	;; [unrolled: 1-line block ×3, first 2 shown]
	v_add_f64 v[112:113], v[118:119], -v[132:133]
	v_fma_f64 v[171:172], v[147:148], s[12:13], v[173:174]
	v_add_f64 v[173:174], v[175:176], v[179:180]
	v_add_f64 v[179:180], v[103:104], v[114:115]
	v_fma_f64 v[175:176], v[181:182], s[12:13], v[183:184]
	v_fma_f64 v[48:49], v[181:182], s[14:15], v[48:49]
	;; [unrolled: 1-line block ×3, first 2 shown]
	v_add_f64 v[93:94], v[107:108], v[124:125]
	v_fma_f64 v[149:150], v[177:178], s[14:15], v[161:162]
	v_add_f64 v[161:162], v[159:160], v[36:37]
	v_add_f64 v[4:5], v[4:5], v[72:73]
	;; [unrolled: 1-line block ×4, first 2 shown]
	v_fma_f64 v[157:158], v[169:170], s[10:11], v[157:158]
	ds_write2_b64 v121, v[44:45], v[46:47] offset0:90 offset1:95
	ds_write2_b64 v163, v[145:146], v[157:158] offset0:100 offset1:110
	v_fma_f64 v[151:152], v[8:9], s[10:11], v[151:152]
	v_fma_f64 v[2:3], v[8:9], s[10:11], v[2:3]
	;; [unrolled: 1-line block ×3, first 2 shown]
	v_add_f64 v[26:27], v[155:156], v[107:108]
	v_add_f64 v[147:148], v[167:168], v[103:104]
	v_fma_f64 v[10:11], v[173:174], s[10:11], v[175:176]
	v_fma_f64 v[93:94], v[93:94], -0.5, v[165:166]
	v_fma_f64 v[118:119], v[179:180], -0.5, v[22:23]
	v_fma_f64 v[48:49], v[173:174], s[10:11], v[48:49]
	v_add_f64 v[44:45], v[101:102], v[134:135]
	v_fma_f64 v[46:47], v[62:63], s[10:11], v[60:61]
	v_add_f64 v[62:63], v[116:117], -v[128:129]
	v_fma_f64 v[116:117], v[161:162], -0.5, v[165:166]
	v_fma_f64 v[155:156], v[153:154], s[10:11], v[171:172]
	v_add_f64 v[4:5], v[4:5], v[14:15]
	v_add_f64 v[0:1], v[0:1], v[32:33]
	v_fma_f64 v[60:61], v[169:170], s[10:11], v[149:150]
	v_add_f64 v[130:131], v[101:102], -v[103:104]
	v_add_f64 v[132:133], v[134:135], -v[114:115]
	v_lshl_add_u32 v161, v143, 3, v142
	ds_write2_b64 v163, v[151:152], v[2:3] offset0:120 offset1:130
	ds_write2_b64 v161, v[4:5], v[155:156] offset0:100 offset1:110
	v_fma_f64 v[8:9], v[153:154], s[10:11], v[8:9]
	v_add_f64 v[26:27], v[26:27], v[124:125]
	v_add_f64 v[128:129], v[147:148], v[114:115]
	v_add_f64 v[2:3], v[159:160], -v[107:108]
	v_add_f64 v[4:5], v[36:37], -v[124:125]
	v_fma_f64 v[126:127], v[90:91], s[6:7], v[93:94]
	v_fma_f64 v[142:143], v[112:113], s[6:7], v[118:119]
	ds_write2_b64 v161, v[10:11], v[48:49] offset0:120 offset1:130
	ds_write_b64 v121, v[0:1] offset:440
	v_add_f64 v[0:1], v[107:108], -v[159:160]
	v_add_f64 v[10:11], v[124:125], -v[36:37]
	v_fma_f64 v[22:23], v[44:45], -0.5, v[22:23]
	ds_write_b64 v121, v[46:47] offset:520
	v_add_f64 v[44:45], v[95:96], v[64:65]
	v_fma_f64 v[46:47], v[62:63], s[4:5], v[116:117]
	v_fma_f64 v[48:49], v[90:91], s[4:5], v[93:94]
	ds_write_b64 v163, v[60:61] offset:1120
	v_add_f64 v[101:102], v[103:104], -v[101:102]
	v_add_f64 v[103:104], v[114:115], -v[134:135]
	;; [unrolled: 1-line block ×5, first 2 shown]
	v_add_f64 v[146:147], v[40:41], v[76:77]
	ds_write_b64 v161, v[8:9] offset:1120
	v_fma_f64 v[8:9], v[62:63], s[6:7], v[116:117]
	v_add_f64 v[93:94], v[26:27], v[36:37]
	v_fma_f64 v[26:27], v[112:113], s[4:5], v[118:119]
	v_add_f64 v[116:117], v[130:131], v[132:133]
	v_add_f64 v[118:119], v[12:13], v[54:55]
	;; [unrolled: 1-line block ×5, first 2 shown]
	v_fma_f64 v[124:125], v[62:63], s[14:15], v[126:127]
	v_fma_f64 v[126:127], v[109:110], s[14:15], v[142:143]
	v_add_f64 v[114:115], v[0:1], v[10:11]
	v_fma_f64 v[128:129], v[109:110], s[4:5], v[22:23]
	v_fma_f64 v[44:45], v[44:45], -0.5, v[24:25]
	v_fma_f64 v[46:47], v[90:91], s[14:15], v[46:47]
	v_fma_f64 v[48:49], v[62:63], s[12:13], v[48:49]
	v_add_f64 v[132:133], v[24:25], v[12:13]
	v_add_f64 v[101:102], v[101:102], v[103:104]
	v_add_f64 v[103:104], v[12:13], -v[95:96]
	v_fma_f64 v[22:23], v[109:110], s[6:7], v[22:23]
	v_add_f64 v[12:13], v[95:96], -v[12:13]
	v_add_f64 v[70:71], v[70:71], -v[97:98]
	v_add_f64 v[148:149], v[58:59], v[50:51]
	v_fma_f64 v[90:91], v[90:91], s[12:13], v[8:9]
	v_add_f64 v[84:85], v[84:85], -v[86:87]
	v_fma_f64 v[26:27], v[109:110], s[12:13], v[26:27]
	v_add_f64 v[142:143], v[76:77], -v[68:69]
	v_fma_f64 v[24:25], v[118:119], -0.5, v[24:25]
	v_add_f64 v[118:119], v[54:55], -v[64:65]
	v_fma_f64 v[78:79], v[130:131], -0.5, v[40:41]
	v_add_f64 v[144:145], v[66:67], -v[52:53]
	v_fma_f64 v[105:106], v[36:37], s[10:11], v[124:125]
	v_fma_f64 v[109:110], v[116:117], s[10:11], v[126:127]
	v_add_f64 v[30:31], v[30:31], -v[14:15]
	v_fma_f64 v[124:125], v[112:113], s[14:15], v[128:129]
	v_fma_f64 v[126:127], v[38:39], s[6:7], v[44:45]
	;; [unrolled: 1-line block ×5, first 2 shown]
	v_add_f64 v[36:37], v[132:133], v[95:96]
	v_add_f64 v[46:47], v[76:77], v[66:67]
	v_add_f64 v[48:49], v[80:81], v[18:19]
	v_add_f64 v[95:96], v[64:65], -v[54:55]
	v_add_f64 v[72:73], v[82:83], -v[72:73]
	;; [unrolled: 1-line block ×3, first 2 shown]
	v_fma_f64 v[90:91], v[114:115], s[10:11], v[90:91]
	v_add_f64 v[114:115], v[28:29], v[56:57]
	v_fma_f64 v[112:113], v[112:113], s[12:13], v[22:23]
	s_waitcnt lgkmcnt(0)
	v_fma_f64 v[132:133], v[99:100], s[4:5], v[24:25]
	v_fma_f64 v[134:135], v[99:100], s[6:7], v[24:25]
	v_add_f64 v[103:104], v[103:104], v[118:119]
	v_fma_f64 v[97:98], v[32:33], s[6:7], v[78:79]
	v_add_f64 v[118:119], v[34:35], v[88:89]
	s_barrier
	buffer_gl0_inv
	ds_read_b64 v[62:63], v138
	ds_read_b64 v[60:61], v139
	v_fma_f64 v[126:127], v[99:100], s[14:15], v[126:127]
	ds_read2_b64 v[4:7], v121 offset0:50 offset1:55
	ds_read2_b64 v[8:11], v121 offset0:100 offset1:105
	v_fma_f64 v[99:100], v[99:100], s[12:13], v[44:45]
	v_fma_f64 v[44:45], v[32:33], s[4:5], v[78:79]
	v_add_f64 v[64:65], v[36:37], v[64:65]
	v_fma_f64 v[36:37], v[46:47], -0.5, v[40:41]
	v_fma_f64 v[40:41], v[48:49], -0.5, v[42:43]
	v_add_f64 v[48:49], v[74:75], -v[20:21]
	v_add_f64 v[74:75], v[12:13], v[95:96]
	v_add_f64 v[12:13], v[146:147], v[68:69]
	v_add_f64 v[68:69], v[68:69], -v[76:77]
	v_fma_f64 v[46:47], v[114:115], -0.5, v[42:43]
	v_add_f64 v[42:43], v[42:43], v[28:29]
	v_add_f64 v[114:115], v[56:57], -v[18:19]
	v_fma_f64 v[78:79], v[38:39], s[14:15], v[132:133]
	v_fma_f64 v[86:87], v[38:39], s[12:13], v[134:135]
	v_add_f64 v[38:39], v[16:17], v[34:35]
	v_fma_f64 v[76:77], v[70:71], s[14:15], v[97:98]
	v_fma_f64 v[97:98], v[118:119], -0.5, v[16:17]
	v_fma_f64 v[16:17], v[148:149], -0.5, v[16:17]
	v_add_f64 v[95:96], v[142:143], v[144:145]
	v_add_f64 v[134:135], v[34:35], -v[58:59]
	v_add_f64 v[142:143], v[88:89], -v[50:51]
	;; [unrolled: 1-line block ×3, first 2 shown]
	ds_read2_b64 v[0:3], v121 offset0:5 offset1:10
	v_fma_f64 v[82:83], v[70:71], s[12:13], v[44:45]
	v_fma_f64 v[116:117], v[116:117], s[10:11], v[26:27]
	;; [unrolled: 1-line block ×4, first 2 shown]
	v_add_f64 v[70:71], v[28:29], -v[80:81]
	v_fma_f64 v[118:119], v[48:49], s[6:7], v[40:41]
	v_fma_f64 v[40:41], v[48:49], s[4:5], v[40:41]
	v_add_f64 v[28:29], v[80:81], -v[28:29]
	v_fma_f64 v[132:133], v[84:85], s[4:5], v[46:47]
	v_add_f64 v[42:43], v[42:43], v[80:81]
	v_add_f64 v[80:81], v[18:19], -v[56:57]
	v_fma_f64 v[46:47], v[84:85], s[6:7], v[46:47]
	v_add_f64 v[148:149], v[12:13], v[52:53]
	v_add_f64 v[144:145], v[38:39], v[58:59]
	v_add_f64 v[58:59], v[58:59], -v[34:35]
	v_fma_f64 v[52:53], v[72:73], s[4:5], v[97:98]
	v_fma_f64 v[150:151], v[30:31], s[6:7], v[16:17]
	;; [unrolled: 1-line block ×4, first 2 shown]
	v_add_f64 v[68:69], v[68:69], v[14:15]
	v_add_f64 v[134:135], v[134:135], v[142:143]
	ds_read2_b64 v[24:27], v121 offset0:60 offset1:65
	ds_read2_b64 v[20:23], v121 offset0:110 offset1:115
	;; [unrolled: 1-line block ×3, first 2 shown]
	v_fma_f64 v[154:155], v[32:33], s[14:15], v[44:45]
	v_fma_f64 v[156:157], v[32:33], s[12:13], v[36:37]
	v_add_f64 v[70:71], v[70:71], v[114:115]
	v_fma_f64 v[114:115], v[84:85], s[14:15], v[118:119]
	v_fma_f64 v[84:85], v[84:85], s[12:13], v[40:41]
	ds_read2_b64 v[36:39], v121 offset0:70 offset1:75
	v_fma_f64 v[132:133], v[48:49], s[14:15], v[132:133]
	v_add_f64 v[118:119], v[42:43], v[18:19]
	v_add_f64 v[80:81], v[28:29], v[80:81]
	v_fma_f64 v[158:159], v[48:49], s[12:13], v[46:47]
	ds_read2_b64 v[32:35], v121 offset0:120 offset1:125
	v_add_f64 v[142:143], v[144:145], v[50:51]
	v_add_f64 v[58:59], v[58:59], v[146:147]
	v_fma_f64 v[144:145], v[30:31], s[14:15], v[52:53]
	v_fma_f64 v[146:147], v[72:73], s[14:15], v[150:151]
	;; [unrolled: 1-line block ×4, first 2 shown]
	ds_read2_b64 v[16:19], v121 offset0:25 offset1:30
	ds_read2_b64 v[44:47], v121 offset0:80 offset1:85
	;; [unrolled: 1-line block ×3, first 2 shown]
	v_fma_f64 v[124:125], v[101:102], s[10:11], v[124:125]
	v_add_f64 v[64:65], v[64:65], v[54:55]
	ds_read2_b64 v[28:31], v121 offset0:35 offset1:45
	ds_read2_b64 v[52:55], v121 offset0:90 offset1:95
	ds_read2_b64 v[48:51], v121 offset0:140 offset1:145
	v_fma_f64 v[101:102], v[101:102], s[10:11], v[112:113]
	v_fma_f64 v[112:113], v[103:104], s[10:11], v[126:127]
	;; [unrolled: 1-line block ×4, first 2 shown]
	v_add_f64 v[66:67], v[148:149], v[66:67]
	v_fma_f64 v[76:77], v[95:96], s[10:11], v[76:77]
	v_fma_f64 v[86:87], v[68:69], s[10:11], v[154:155]
	;; [unrolled: 1-line block ×5, first 2 shown]
	v_add_f64 v[56:57], v[118:119], v[56:57]
	v_fma_f64 v[95:96], v[70:71], s[10:11], v[114:115]
	v_fma_f64 v[70:71], v[70:71], s[10:11], v[84:85]
	;; [unrolled: 1-line block ×4, first 2 shown]
	v_add_f64 v[88:89], v[142:143], v[88:89]
	v_fma_f64 v[114:115], v[134:135], s[10:11], v[146:147]
	v_fma_f64 v[103:104], v[58:59], s[10:11], v[144:145]
	;; [unrolled: 1-line block ×4, first 2 shown]
	s_waitcnt lgkmcnt(0)
	s_barrier
	buffer_gl0_inv
	ds_write2_b64 v121, v[93:94], v[107:108] offset1:5
	ds_write2_b64 v121, v[105:106], v[109:110] offset0:10 offset1:15
	ds_write2_b64 v121, v[128:129], v[124:125] offset0:20 offset1:25
	;; [unrolled: 1-line block ×4, first 2 shown]
	ds_write_b64 v121, v[64:65] offset:400
	ds_write_b64 v121, v[112:113] offset:480
	;; [unrolled: 1-line block ×3, first 2 shown]
	ds_write_b64 v137, v[74:75]
	ds_write_b64 v121, v[66:67] offset:440
	ds_write_b64 v121, v[76:77] offset:520
	ds_write2_b64 v121, v[86:87], v[68:69] offset0:75 offset1:85
	ds_write2_b64 v121, v[99:100], v[82:83] offset0:90 offset1:95
	;; [unrolled: 1-line block ×4, first 2 shown]
	ds_write_b64 v163, v[70:71] offset:1120
	ds_write2_b64 v161, v[88:89], v[114:115] offset0:100 offset1:110
	ds_write2_b64 v161, v[103:104], v[58:59] offset0:120 offset1:130
	ds_write_b64 v161, v[72:73] offset:1120
	s_waitcnt lgkmcnt(0)
	s_barrier
	buffer_gl0_inv
	s_and_saveexec_b32 s0, vcc_lo
	s_cbranch_execz .LBB0_14
; %bb.13:
	v_add_nc_u32_e32 v64, 45, v120
	v_lshlrev_b32_e32 v90, 1, v120
	v_add_nc_u32_e32 v65, 30, v120
	s_mov_b32 s0, 0xe8584caa
	s_mov_b32 s1, 0xbfebb67a
	v_lshlrev_b32_e32 v91, 1, v64
	v_mul_hi_u32 v64, 0x51eb851f, v64
	s_mov_b32 s5, 0x3febb67a
	s_mov_b32 s4, s0
	v_lshlrev_b64 v[56:57], 4, v[91:92]
	v_lshlrev_b32_e32 v91, 1, v136
	v_lshlrev_b64 v[58:59], 4, v[91:92]
	v_add_co_u32 v56, vcc_lo, s8, v56
	v_add_co_ci_u32_e32 v57, vcc_lo, s9, v57, vcc_lo
	v_add_nc_u32_e32 v91, 0x46, v90
	v_add_co_u32 v58, vcc_lo, s8, v58
	v_add_co_ci_u32_e32 v59, vcc_lo, s9, v59, vcc_lo
	v_lshlrev_b64 v[82:83], 4, v[91:92]
	s_clause 0x1
	global_load_dwordx4 v[66:69], v[56:57], off offset:640
	global_load_dwordx4 v[70:73], v[58:59], off offset:640
	v_lshlrev_b32_e32 v91, 1, v65
	s_clause 0x1
	global_load_dwordx4 v[74:77], v[56:57], off offset:656
	global_load_dwordx4 v[78:81], v[58:59], off offset:656
	v_add_co_u32 v58, vcc_lo, s8, v82
	v_lshlrev_b64 v[56:57], 4, v[91:92]
	v_add_co_ci_u32_e32 v59, vcc_lo, s9, v83, vcc_lo
	v_mov_b32_e32 v91, v92
	v_mul_hi_u32 v65, 0x51eb851f, v65
	v_add_co_u32 v56, vcc_lo, s8, v56
	v_add_co_ci_u32_e32 v57, vcc_lo, s9, v57, vcc_lo
	s_clause 0x3
	global_load_dwordx4 v[82:85], v[58:59], off offset:640
	global_load_dwordx4 v[86:89], v[56:57], off offset:640
	;; [unrolled: 1-line block ×4, first 2 shown]
	v_lshlrev_b64 v[97:98], 4, v[90:91]
	v_lshlrev_b32_e32 v91, 1, v111
	v_lshlrev_b64 v[105:106], 4, v[91:92]
	v_add_co_u32 v101, vcc_lo, s8, v97
	v_add_co_ci_u32_e32 v102, vcc_lo, s9, v98, vcc_lo
	v_lshlrev_b32_e32 v91, 1, v141
	v_add_co_u32 v109, vcc_lo, s8, v105
	v_add_co_ci_u32_e32 v110, vcc_lo, s9, v106, vcc_lo
	global_load_dwordx4 v[97:100], v[101:102], off offset:640
	v_lshlrev_b64 v[112:113], 4, v[91:92]
	v_add_nc_u32_e32 v91, 30, v90
	s_clause 0x2
	global_load_dwordx4 v[105:108], v[109:110], off offset:640
	global_load_dwordx4 v[101:104], v[101:102], off offset:656
	;; [unrolled: 1-line block ×3, first 2 shown]
	v_add_co_u32 v124, vcc_lo, s8, v112
	v_add_co_ci_u32_e32 v125, vcc_lo, s9, v113, vcc_lo
	v_lshlrev_b64 v[128:129], 4, v[91:92]
	v_add_nc_u32_e32 v91, 20, v90
	s_clause 0x1
	global_load_dwordx4 v[112:115], v[124:125], off offset:640
	global_load_dwordx4 v[124:127], v[124:125], off offset:656
	v_lshlrev_b64 v[90:91], 4, v[91:92]
	v_add_co_u32 v109, vcc_lo, s8, v128
	v_add_co_ci_u32_e32 v110, vcc_lo, s9, v129, vcc_lo
	v_add_co_u32 v136, vcc_lo, s8, v90
	v_add_co_ci_u32_e32 v137, vcc_lo, s9, v91, vcc_lo
	global_load_dwordx4 v[128:131], v[109:110], off offset:640
	v_lshlrev_b32_e32 v91, 1, v140
	s_clause 0x2
	global_load_dwordx4 v[140:143], v[109:110], off offset:656
	global_load_dwordx4 v[132:135], v[136:137], off offset:640
	;; [unrolled: 1-line block ×3, first 2 shown]
	v_lshlrev_b64 v[90:91], 4, v[91:92]
	v_add_co_u32 v90, vcc_lo, s8, v90
	v_add_co_ci_u32_e32 v91, vcc_lo, s9, v91, vcc_lo
	s_clause 0x1
	global_load_dwordx4 v[148:151], v[90:91], off offset:640
	global_load_dwordx4 v[152:155], v[90:91], off offset:656
	ds_read2_b64 v[156:159], v121 offset0:90 offset1:95
	ds_read2_b64 v[160:163], v121 offset0:140 offset1:145
	;; [unrolled: 1-line block ×4, first 2 shown]
	s_waitcnt vmcnt(19)
	v_mul_f64 v[90:91], v[54:55], v[68:69]
	s_waitcnt lgkmcnt(3)
	v_mul_f64 v[68:69], v[158:159], v[68:69]
	s_waitcnt vmcnt(18)
	v_mul_f64 v[109:110], v[52:53], v[72:73]
	v_mul_f64 v[72:73], v[156:157], v[72:73]
	s_waitcnt vmcnt(17)
	v_mul_f64 v[136:137], v[50:51], v[76:77]
	s_waitcnt lgkmcnt(2)
	v_mul_f64 v[76:77], v[162:163], v[76:77]
	s_waitcnt vmcnt(16)
	v_mul_f64 v[172:173], v[48:49], v[80:81]
	v_mul_f64 v[80:81], v[160:161], v[80:81]
	s_waitcnt vmcnt(15)
	v_mul_f64 v[174:175], v[46:47], v[84:85]
	s_waitcnt lgkmcnt(1)
	v_mul_f64 v[84:85], v[166:167], v[84:85]
	s_waitcnt vmcnt(13)
	v_mul_f64 v[180:181], v[42:43], v[95:96]
	s_waitcnt lgkmcnt(0)
	v_mul_f64 v[95:96], v[170:171], v[95:96]
	s_waitcnt vmcnt(12)
	v_mul_f64 v[182:183], v[40:41], v[58:59]
	v_mul_f64 v[58:59], v[168:169], v[58:59]
	v_fma_f64 v[176:177], v[158:159], v[66:67], -v[90:91]
	v_mul_f64 v[90:91], v[44:45], v[88:89]
	v_mul_f64 v[88:89], v[164:165], v[88:89]
	v_fma_f64 v[54:55], v[54:55], v[66:67], v[68:69]
	v_fma_f64 v[109:110], v[156:157], v[70:71], -v[109:110]
	ds_read2_b64 v[66:69], v121 offset0:35 offset1:45
	v_fma_f64 v[178:179], v[52:53], v[70:71], v[72:73]
	v_fma_f64 v[136:137], v[162:163], v[74:75], -v[136:137]
	v_fma_f64 v[162:163], v[50:51], v[74:75], v[76:77]
	ds_read2_b64 v[50:53], v121 offset0:25 offset1:30
	v_fma_f64 v[160:161], v[160:161], v[78:79], -v[172:173]
	ds_read2_b64 v[70:73], v121 offset0:70 offset1:75
	v_fma_f64 v[172:173], v[48:49], v[78:79], v[80:81]
	ds_read2_b64 v[74:77], v121 offset0:50 offset1:55
	ds_read2_b64 v[78:81], v121 offset0:120 offset1:125
	v_fma_f64 v[166:167], v[166:167], v[82:83], -v[174:175]
	v_fma_f64 v[174:175], v[46:47], v[82:83], v[84:85]
	ds_read2_b64 v[46:49], v121 offset0:15 offset1:20
	ds_read2_b64 v[82:85], v121 offset0:60 offset1:65
	v_fma_f64 v[170:171], v[170:171], v[93:94], -v[180:181]
	v_fma_f64 v[93:94], v[42:43], v[93:94], v[95:96]
	v_fma_f64 v[95:96], v[168:169], v[56:57], -v[182:183]
	v_fma_f64 v[164:165], v[164:165], v[86:87], -v[90:91]
	v_fma_f64 v[184:185], v[44:45], v[86:87], v[88:89]
	ds_read2_b64 v[86:89], v121 offset0:110 offset1:115
	ds_read2_b64 v[156:159], v121 offset0:100 offset1:105
	v_fma_f64 v[40:41], v[40:41], v[56:57], v[58:59]
	s_waitcnt vmcnt(11)
	v_mul_f64 v[180:181], v[4:5], v[99:100]
	ds_read2_b64 v[42:45], v121 offset0:5 offset1:10
	v_mov_b32_e32 v121, v92
	v_mul_hi_u32 v90, 0x51eb851f, v111
	v_add_co_u32 v91, vcc_lo, s2, v122
	s_waitcnt lgkmcnt(6)
	v_mul_f64 v[56:57], v[74:75], v[99:100]
	s_waitcnt vmcnt(9)
	v_mul_f64 v[99:100], v[8:9], v[103:104]
	v_lshlrev_b64 v[58:59], 4, v[120:121]
	v_add_co_ci_u32_e32 v111, vcc_lo, s3, v123, vcc_lo
	v_lshrrev_b32_e32 v90, 4, v90
	ds_read_b64 v[168:169], v139
	ds_read_b64 v[138:139], v138
	v_add_co_u32 v120, vcc_lo, v91, v58
	v_add_co_ci_u32_e32 v121, vcc_lo, v111, v59, vcc_lo
	s_waitcnt lgkmcnt(3)
	v_mul_f64 v[103:104], v[156:157], v[103:104]
	v_mul_u32_u24_e32 v91, 0x64, v90
	v_lshrrev_b32_e32 v90, 4, v65
	v_lshrrev_b32_e32 v111, 4, v64
	v_mul_f64 v[64:65], v[72:73], v[107:108]
	v_mul_f64 v[58:59], v[38:39], v[107:108]
	v_fma_f64 v[74:75], v[74:75], v[97:98], -v[180:181]
	v_lshlrev_b64 v[107:108], 4, v[91:92]
	v_mul_u32_u24_e32 v91, 0x64, v90
	v_add_co_u32 v122, vcc_lo, 0x800, v120
	v_fma_f64 v[4:5], v[4:5], v[97:98], v[56:57]
	s_waitcnt vmcnt(7)
	v_mul_f64 v[56:57], v[36:37], v[114:115]
	v_fma_f64 v[97:98], v[156:157], v[101:102], -v[99:100]
	v_lshlrev_b64 v[99:100], 4, v[91:92]
	v_add_co_ci_u32_e32 v123, vcc_lo, 0, v121, vcc_lo
	v_mul_u32_u24_e32 v91, 0x64, v111
	v_add_co_u32 v156, vcc_lo, v120, v107
	v_add_co_ci_u32_e32 v157, vcc_lo, v121, v108, vcc_lo
	v_fma_f64 v[8:9], v[8:9], v[101:102], v[103:104]
	v_mul_f64 v[101:102], v[70:71], v[114:115]
	v_mul_f64 v[103:104], v[34:35], v[118:119]
	v_lshlrev_b64 v[90:91], 4, v[91:92]
	v_fma_f64 v[38:39], v[38:39], v[105:106], v[64:65]
	v_mul_f64 v[64:65], v[80:81], v[118:119]
	v_add_co_u32 v118, vcc_lo, v120, v99
	v_add_co_ci_u32_e32 v119, vcc_lo, v121, v100, vcc_lo
	v_fma_f64 v[58:59], v[72:73], v[105:106], -v[58:59]
	s_waitcnt vmcnt(6)
	v_mul_f64 v[72:73], v[32:33], v[126:127]
	v_fma_f64 v[56:57], v[70:71], v[112:113], -v[56:57]
	v_mul_f64 v[70:71], v[78:79], v[126:127]
	v_add_co_u32 v126, vcc_lo, 0x1e0, v118
	v_add_co_ci_u32_e32 v127, vcc_lo, 0, v119, vcc_lo
	s_waitcnt vmcnt(5)
	v_mul_f64 v[99:100], v[26:27], v[130:131]
	s_waitcnt vmcnt(3)
	v_mul_f64 v[105:106], v[82:83], v[134:135]
	v_add_f64 v[107:108], v[74:75], v[97:98]
	v_add_f64 v[182:183], v[18:19], v[184:185]
	v_add_f64 v[180:181], v[184:185], -v[40:41]
	v_fma_f64 v[36:37], v[36:37], v[112:113], v[101:102]
	v_mul_f64 v[101:102], v[84:85], v[130:131]
	v_add_co_u32 v130, vcc_lo, v120, v90
	v_add_co_ci_u32_e32 v131, vcc_lo, v121, v91, vcc_lo
	v_mul_f64 v[90:91], v[24:25], v[134:135]
	v_fma_f64 v[64:65], v[34:35], v[116:117], v[64:65]
	v_mul_f64 v[34:35], v[22:23], v[142:143]
	v_fma_f64 v[80:81], v[80:81], v[116:117], -v[103:104]
	v_fma_f64 v[72:73], v[78:79], v[124:125], -v[72:73]
	v_mul_f64 v[78:79], v[88:89], v[142:143]
	s_waitcnt vmcnt(2)
	v_mul_f64 v[103:104], v[20:21], v[146:147]
	v_fma_f64 v[70:71], v[32:33], v[124:125], v[70:71]
	v_mul_f64 v[32:33], v[86:87], v[146:147]
	s_waitcnt lgkmcnt(0)
	v_add_f64 v[113:114], v[138:139], v[74:75]
	s_waitcnt vmcnt(1)
	v_mul_f64 v[115:116], v[76:77], v[150:151]
	v_fma_f64 v[84:85], v[84:85], v[128:129], -v[99:100]
	v_add_f64 v[99:100], v[4:5], v[8:9]
	v_fma_f64 v[105:106], v[24:25], v[132:133], v[105:106]
	s_waitcnt vmcnt(0)
	v_mul_f64 v[24:25], v[158:159], v[154:155]
	v_add_f64 v[111:112], v[4:5], -v[8:9]
	v_add_f64 v[4:5], v[62:63], v[4:5]
	v_fma_f64 v[26:27], v[26:27], v[128:129], v[101:102]
	v_mul_f64 v[101:102], v[6:7], v[150:151]
	v_add_f64 v[128:129], v[54:55], -v[162:163]
	v_add_f64 v[150:151], v[60:61], v[178:179]
	v_add_f64 v[74:75], v[74:75], -v[97:98]
	v_fma_f64 v[82:83], v[82:83], v[132:133], -v[90:91]
	v_mul_f64 v[90:91], v[10:11], v[154:155]
	v_fma_f64 v[88:89], v[88:89], v[140:141], -v[34:35]
	v_add_f64 v[34:35], v[54:55], v[162:163]
	v_add_f64 v[54:55], v[30:31], v[54:55]
	v_fma_f64 v[78:79], v[22:23], v[140:141], v[78:79]
	v_add_f64 v[140:141], v[109:110], v[160:161]
	v_fma_f64 v[86:87], v[86:87], v[144:145], -v[103:104]
	v_add_f64 v[103:104], v[178:179], -v[172:173]
	v_add_f64 v[146:147], v[168:169], v[109:110]
	v_fma_f64 v[144:145], v[20:21], v[144:145], v[32:33]
	v_add_f64 v[32:33], v[178:179], v[172:173]
	v_add_f64 v[154:155], v[166:167], v[170:171]
	;; [unrolled: 1-line block ×7, first 2 shown]
	v_fma_f64 v[76:77], v[76:77], v[148:149], -v[101:102]
	v_fma_f64 v[62:63], v[99:100], -0.5, v[62:63]
	v_fma_f64 v[99:100], v[6:7], v[148:149], v[115:116]
	v_fma_f64 v[115:116], v[10:11], v[152:153], v[24:25]
	v_add_f64 v[124:125], v[176:177], v[136:137]
	v_fma_f64 v[90:91], v[158:159], v[152:153], -v[90:91]
	v_fma_f64 v[107:108], v[107:108], -0.5, v[138:139]
	v_add_f64 v[138:139], v[184:185], v[40:41]
	v_add_f64 v[148:149], v[58:59], v[80:81]
	v_add_f64 v[158:159], v[50:51], v[58:59]
	v_add_f64 v[184:185], v[58:59], -v[80:81]
	v_add_f64 v[58:59], v[38:39], v[64:65]
	v_add_f64 v[20:21], v[4:5], v[8:9]
	;; [unrolled: 1-line block ×6, first 2 shown]
	v_fma_f64 v[140:141], v[140:141], -0.5, v[168:169]
	v_add_f64 v[8:9], v[150:151], v[172:173]
	v_add_f64 v[150:151], v[84:85], v[88:89]
	;; [unrolled: 1-line block ×3, first 2 shown]
	v_add_f64 v[172:173], v[84:85], -v[88:89]
	v_add_f64 v[84:85], v[26:27], v[78:79]
	v_add_f64 v[142:143], v[176:177], -v[136:137]
	v_add_f64 v[109:110], v[109:110], -v[160:161]
	;; [unrolled: 1-line block ×4, first 2 shown]
	v_add_f64 v[10:11], v[146:147], v[160:161]
	v_fma_f64 v[146:147], v[32:33], -0.5, v[60:61]
	v_add_f64 v[160:161], v[26:27], -v[78:79]
	v_add_f64 v[192:193], v[12:13], v[26:27]
	v_fma_f64 v[66:67], v[154:155], -0.5, v[66:67]
	v_add_f64 v[26:27], v[178:179], v[170:171]
	v_fma_f64 v[154:155], v[97:98], -0.5, v[28:29]
	v_add_f64 v[24:25], v[113:114], v[93:94]
	v_add_f64 v[92:93], v[82:83], v[86:87]
	;; [unrolled: 1-line block ×3, first 2 shown]
	v_add_f64 v[170:171], v[82:83], -v[86:87]
	v_add_f64 v[82:83], v[105:106], v[144:145]
	v_add_f64 v[6:7], v[132:133], v[136:137]
	v_add_f64 v[132:133], v[36:37], -v[70:71]
	v_add_f64 v[190:191], v[14:15], v[36:37]
	v_add_f64 v[28:29], v[182:183], v[40:41]
	v_fma_f64 v[32:33], v[74:75], s[4:5], v[62:63]
	v_fma_f64 v[36:37], v[74:75], s[0:1], v[62:63]
	v_add_f64 v[40:41], v[76:77], v[90:91]
	v_add_f64 v[62:63], v[99:100], v[115:116]
	;; [unrolled: 1-line block ×5, first 2 shown]
	v_add_f64 v[113:114], v[105:106], -v[144:145]
	v_add_f64 v[105:106], v[2:3], v[105:106]
	v_add_f64 v[152:153], v[38:39], -v[64:65]
	v_fma_f64 v[68:69], v[124:125], -0.5, v[68:69]
	v_fma_f64 v[124:125], v[34:35], -0.5, v[30:31]
	v_fma_f64 v[34:35], v[111:112], s[0:1], v[107:108]
	v_fma_f64 v[38:39], v[111:112], s[4:5], v[107:108]
	v_add_f64 v[74:75], v[42:43], v[76:77]
	v_add_f64 v[111:112], v[76:77], -v[90:91]
	v_add_f64 v[76:77], v[0:1], v[99:100]
	v_fma_f64 v[138:139], v[138:139], -0.5, v[18:19]
	v_fma_f64 v[148:149], v[148:149], -0.5, v[50:51]
	v_add_f64 v[18:19], v[158:159], v[80:81]
	v_fma_f64 v[158:159], v[58:59], -0.5, v[16:17]
	v_add_f64 v[164:165], v[164:165], -v[95:96]
	v_add_f64 v[162:163], v[56:57], -v[72:73]
	v_add_f64 v[30:31], v[101:102], v[95:96]
	v_add_f64 v[107:108], v[99:100], -v[115:116]
	v_fma_f64 v[94:95], v[54:55], -0.5, v[48:49]
	v_fma_f64 v[99:100], v[188:189], -0.5, v[14:15]
	v_fma_f64 v[60:61], v[103:104], s[0:1], v[140:141]
	v_fma_f64 v[48:49], v[103:104], s[4:5], v[140:141]
	v_fma_f64 v[101:102], v[150:151], -0.5, v[46:47]
	v_fma_f64 v[103:104], v[84:85], -0.5, v[12:13]
	v_fma_f64 v[58:59], v[109:110], s[4:5], v[146:147]
	v_fma_f64 v[46:47], v[109:110], s[0:1], v[146:147]
	v_fma_f64 v[44:45], v[92:93], -0.5, v[44:45]
	v_fma_f64 v[109:110], v[82:83], -0.5, v[2:3]
	;; [unrolled: 1-line block ×5, first 2 shown]
	v_add_f64 v[56:57], v[136:137], v[72:73]
	v_add_f64 v[54:55], v[190:191], v[70:71]
	v_add_f64 v[14:15], v[168:169], v[88:89]
	v_add_f64 v[12:13], v[192:193], v[78:79]
	v_add_f64 v[16:17], v[186:187], v[64:65]
	v_add_f64 v[64:65], v[97:98], v[86:87]
	v_add_f64 v[62:63], v[105:106], v[144:145]
	v_add_f64 v[72:73], v[74:75], v[90:91]
	v_add_f64 v[70:71], v[76:77], v[115:116]
	v_fma_f64 v[76:77], v[152:153], s[0:1], v[148:149]
	v_fma_f64 v[74:75], v[184:185], s[4:5], v[158:159]
	;; [unrolled: 1-line block ×22, first 2 shown]
	global_store_dwordx4 v[120:121], v[20:23], off
	v_fma_f64 v[22:23], v[128:129], s[0:1], v[68:69]
	v_fma_f64 v[52:53], v[128:129], s[4:5], v[68:69]
	;; [unrolled: 1-line block ×6, first 2 shown]
	v_add_co_u32 v134, vcc_lo, 0x2d0, v130
	v_fma_f64 v[40:41], v[166:167], s[0:1], v[154:155]
	v_add_co_ci_u32_e32 v135, vcc_lo, 0, v131, vcc_lo
	v_fma_f64 v[20:21], v[142:143], s[4:5], v[124:125]
	v_fma_f64 v[50:51], v[142:143], s[0:1], v[124:125]
	;; [unrolled: 1-line block ×3, first 2 shown]
	global_store_dwordx4 v[120:121], v[36:39], off offset:800
	global_store_dwordx4 v[120:121], v[32:35], off offset:1600
	;; [unrolled: 1-line block ×29, first 2 shown]
.LBB0_14:
	s_endpgm
	.section	.rodata,"a",@progbits
	.p2align	6, 0x0
	.amdhsa_kernel fft_rtc_back_len150_factors_10_5_3_wgs_60_tpt_5_halfLds_dp_ip_CI_unitstride_sbrr_dirReg
		.amdhsa_group_segment_fixed_size 0
		.amdhsa_private_segment_fixed_size 0
		.amdhsa_kernarg_size 88
		.amdhsa_user_sgpr_count 6
		.amdhsa_user_sgpr_private_segment_buffer 1
		.amdhsa_user_sgpr_dispatch_ptr 0
		.amdhsa_user_sgpr_queue_ptr 0
		.amdhsa_user_sgpr_kernarg_segment_ptr 1
		.amdhsa_user_sgpr_dispatch_id 0
		.amdhsa_user_sgpr_flat_scratch_init 0
		.amdhsa_user_sgpr_private_segment_size 0
		.amdhsa_wavefront_size32 1
		.amdhsa_uses_dynamic_stack 0
		.amdhsa_system_sgpr_private_segment_wavefront_offset 0
		.amdhsa_system_sgpr_workgroup_id_x 1
		.amdhsa_system_sgpr_workgroup_id_y 0
		.amdhsa_system_sgpr_workgroup_id_z 0
		.amdhsa_system_sgpr_workgroup_info 0
		.amdhsa_system_vgpr_workitem_id 0
		.amdhsa_next_free_vgpr 194
		.amdhsa_next_free_sgpr 21
		.amdhsa_reserve_vcc 1
		.amdhsa_reserve_flat_scratch 0
		.amdhsa_float_round_mode_32 0
		.amdhsa_float_round_mode_16_64 0
		.amdhsa_float_denorm_mode_32 3
		.amdhsa_float_denorm_mode_16_64 3
		.amdhsa_dx10_clamp 1
		.amdhsa_ieee_mode 1
		.amdhsa_fp16_overflow 0
		.amdhsa_workgroup_processor_mode 1
		.amdhsa_memory_ordered 1
		.amdhsa_forward_progress 0
		.amdhsa_shared_vgpr_count 0
		.amdhsa_exception_fp_ieee_invalid_op 0
		.amdhsa_exception_fp_denorm_src 0
		.amdhsa_exception_fp_ieee_div_zero 0
		.amdhsa_exception_fp_ieee_overflow 0
		.amdhsa_exception_fp_ieee_underflow 0
		.amdhsa_exception_fp_ieee_inexact 0
		.amdhsa_exception_int_div_zero 0
	.end_amdhsa_kernel
	.text
.Lfunc_end0:
	.size	fft_rtc_back_len150_factors_10_5_3_wgs_60_tpt_5_halfLds_dp_ip_CI_unitstride_sbrr_dirReg, .Lfunc_end0-fft_rtc_back_len150_factors_10_5_3_wgs_60_tpt_5_halfLds_dp_ip_CI_unitstride_sbrr_dirReg
                                        ; -- End function
	.section	.AMDGPU.csdata,"",@progbits
; Kernel info:
; codeLenInByte = 13116
; NumSgprs: 23
; NumVgprs: 194
; ScratchSize: 0
; MemoryBound: 1
; FloatMode: 240
; IeeeMode: 1
; LDSByteSize: 0 bytes/workgroup (compile time only)
; SGPRBlocks: 2
; VGPRBlocks: 24
; NumSGPRsForWavesPerEU: 23
; NumVGPRsForWavesPerEU: 194
; Occupancy: 4
; WaveLimiterHint : 1
; COMPUTE_PGM_RSRC2:SCRATCH_EN: 0
; COMPUTE_PGM_RSRC2:USER_SGPR: 6
; COMPUTE_PGM_RSRC2:TRAP_HANDLER: 0
; COMPUTE_PGM_RSRC2:TGID_X_EN: 1
; COMPUTE_PGM_RSRC2:TGID_Y_EN: 0
; COMPUTE_PGM_RSRC2:TGID_Z_EN: 0
; COMPUTE_PGM_RSRC2:TIDIG_COMP_CNT: 0
	.text
	.p2alignl 6, 3214868480
	.fill 48, 4, 3214868480
	.type	__hip_cuid_bfa93e1f316f0604,@object ; @__hip_cuid_bfa93e1f316f0604
	.section	.bss,"aw",@nobits
	.globl	__hip_cuid_bfa93e1f316f0604
__hip_cuid_bfa93e1f316f0604:
	.byte	0                               ; 0x0
	.size	__hip_cuid_bfa93e1f316f0604, 1

	.ident	"AMD clang version 19.0.0git (https://github.com/RadeonOpenCompute/llvm-project roc-6.4.0 25133 c7fe45cf4b819c5991fe208aaa96edf142730f1d)"
	.section	".note.GNU-stack","",@progbits
	.addrsig
	.addrsig_sym __hip_cuid_bfa93e1f316f0604
	.amdgpu_metadata
---
amdhsa.kernels:
  - .args:
      - .actual_access:  read_only
        .address_space:  global
        .offset:         0
        .size:           8
        .value_kind:     global_buffer
      - .offset:         8
        .size:           8
        .value_kind:     by_value
      - .actual_access:  read_only
        .address_space:  global
        .offset:         16
        .size:           8
        .value_kind:     global_buffer
      - .actual_access:  read_only
        .address_space:  global
        .offset:         24
        .size:           8
        .value_kind:     global_buffer
      - .offset:         32
        .size:           8
        .value_kind:     by_value
      - .actual_access:  read_only
        .address_space:  global
        .offset:         40
        .size:           8
        .value_kind:     global_buffer
      - .actual_access:  read_only
        .address_space:  global
        .offset:         48
        .size:           8
        .value_kind:     global_buffer
      - .offset:         56
        .size:           4
        .value_kind:     by_value
      - .actual_access:  read_only
        .address_space:  global
        .offset:         64
        .size:           8
        .value_kind:     global_buffer
      - .actual_access:  read_only
        .address_space:  global
        .offset:         72
        .size:           8
        .value_kind:     global_buffer
      - .address_space:  global
        .offset:         80
        .size:           8
        .value_kind:     global_buffer
    .group_segment_fixed_size: 0
    .kernarg_segment_align: 8
    .kernarg_segment_size: 88
    .language:       OpenCL C
    .language_version:
      - 2
      - 0
    .max_flat_workgroup_size: 60
    .name:           fft_rtc_back_len150_factors_10_5_3_wgs_60_tpt_5_halfLds_dp_ip_CI_unitstride_sbrr_dirReg
    .private_segment_fixed_size: 0
    .sgpr_count:     23
    .sgpr_spill_count: 0
    .symbol:         fft_rtc_back_len150_factors_10_5_3_wgs_60_tpt_5_halfLds_dp_ip_CI_unitstride_sbrr_dirReg.kd
    .uniform_work_group_size: 1
    .uses_dynamic_stack: false
    .vgpr_count:     194
    .vgpr_spill_count: 0
    .wavefront_size: 32
    .workgroup_processor_mode: 1
amdhsa.target:   amdgcn-amd-amdhsa--gfx1030
amdhsa.version:
  - 1
  - 2
...

	.end_amdgpu_metadata
